;; amdgpu-corpus repo=ROCm/rocFFT kind=compiled arch=gfx906 opt=O3
	.text
	.amdgcn_target "amdgcn-amd-amdhsa--gfx906"
	.amdhsa_code_object_version 6
	.protected	fft_rtc_fwd_len150_factors_10_5_3_wgs_60_tpt_5_halfLds_half_ip_CI_sbrr_dirReg ; -- Begin function fft_rtc_fwd_len150_factors_10_5_3_wgs_60_tpt_5_halfLds_half_ip_CI_sbrr_dirReg
	.globl	fft_rtc_fwd_len150_factors_10_5_3_wgs_60_tpt_5_halfLds_half_ip_CI_sbrr_dirReg
	.p2align	8
	.type	fft_rtc_fwd_len150_factors_10_5_3_wgs_60_tpt_5_halfLds_half_ip_CI_sbrr_dirReg,@function
fft_rtc_fwd_len150_factors_10_5_3_wgs_60_tpt_5_halfLds_half_ip_CI_sbrr_dirReg: ; @fft_rtc_fwd_len150_factors_10_5_3_wgs_60_tpt_5_halfLds_half_ip_CI_sbrr_dirReg
; %bb.0:
	s_load_dwordx2 s[14:15], s[4:5], 0x18
	s_load_dwordx4 s[8:11], s[4:5], 0x0
	s_load_dwordx2 s[12:13], s[4:5], 0x50
	v_mul_u32_u24_e32 v1, 0x3334, v0
	v_lshrrev_b32_e32 v1, 16, v1
	s_waitcnt lgkmcnt(0)
	s_load_dwordx2 s[2:3], s[14:15], 0x0
	v_mad_u64_u32 v[1:2], s[0:1], s6, 12, v[1:2]
	v_mov_b32_e32 v5, 0
	v_cmp_lt_u64_e64 s[0:1], s[10:11], 2
	v_mov_b32_e32 v2, v5
	v_mov_b32_e32 v3, 0
	;; [unrolled: 1-line block ×3, first 2 shown]
	s_and_b64 vcc, exec, s[0:1]
	v_mov_b32_e32 v4, 0
	v_mov_b32_e32 v9, v1
	s_cbranch_vccnz .LBB0_8
; %bb.1:
	s_load_dwordx2 s[0:1], s[4:5], 0x10
	s_add_u32 s6, s14, 8
	s_addc_u32 s7, s15, 0
	v_mov_b32_e32 v3, 0
	v_mov_b32_e32 v8, v2
	s_waitcnt lgkmcnt(0)
	s_add_u32 s18, s0, 8
	s_mov_b64 s[16:17], 1
	v_mov_b32_e32 v4, 0
	s_addc_u32 s19, s1, 0
	v_mov_b32_e32 v7, v1
.LBB0_2:                                ; =>This Inner Loop Header: Depth=1
	s_load_dwordx2 s[20:21], s[18:19], 0x0
                                        ; implicit-def: $vgpr9_vgpr10
	s_waitcnt lgkmcnt(0)
	v_or_b32_e32 v6, s21, v8
	v_cmp_ne_u64_e32 vcc, 0, v[5:6]
	s_and_saveexec_b64 s[0:1], vcc
	s_xor_b64 s[22:23], exec, s[0:1]
	s_cbranch_execz .LBB0_4
; %bb.3:                                ;   in Loop: Header=BB0_2 Depth=1
	v_cvt_f32_u32_e32 v2, s20
	v_cvt_f32_u32_e32 v6, s21
	s_sub_u32 s0, 0, s20
	s_subb_u32 s1, 0, s21
	v_mac_f32_e32 v2, 0x4f800000, v6
	v_rcp_f32_e32 v2, v2
	v_mul_f32_e32 v2, 0x5f7ffffc, v2
	v_mul_f32_e32 v6, 0x2f800000, v2
	v_trunc_f32_e32 v6, v6
	v_mac_f32_e32 v2, 0xcf800000, v6
	v_cvt_u32_f32_e32 v6, v6
	v_cvt_u32_f32_e32 v2, v2
	v_mul_lo_u32 v9, s0, v6
	v_mul_hi_u32 v10, s0, v2
	v_mul_lo_u32 v12, s1, v2
	v_mul_lo_u32 v11, s0, v2
	v_add_u32_e32 v9, v10, v9
	v_add_u32_e32 v9, v9, v12
	v_mul_hi_u32 v10, v2, v11
	v_mul_lo_u32 v12, v2, v9
	v_mul_hi_u32 v14, v2, v9
	v_mul_hi_u32 v13, v6, v11
	v_mul_lo_u32 v11, v6, v11
	v_mul_hi_u32 v15, v6, v9
	v_add_co_u32_e32 v10, vcc, v10, v12
	v_addc_co_u32_e32 v12, vcc, 0, v14, vcc
	v_mul_lo_u32 v9, v6, v9
	v_add_co_u32_e32 v10, vcc, v10, v11
	v_addc_co_u32_e32 v10, vcc, v12, v13, vcc
	v_addc_co_u32_e32 v11, vcc, 0, v15, vcc
	v_add_co_u32_e32 v9, vcc, v10, v9
	v_addc_co_u32_e32 v10, vcc, 0, v11, vcc
	v_add_co_u32_e32 v2, vcc, v2, v9
	v_addc_co_u32_e32 v6, vcc, v6, v10, vcc
	v_mul_lo_u32 v9, s0, v6
	v_mul_hi_u32 v10, s0, v2
	v_mul_lo_u32 v11, s1, v2
	v_mul_lo_u32 v12, s0, v2
	v_add_u32_e32 v9, v10, v9
	v_add_u32_e32 v9, v9, v11
	v_mul_lo_u32 v13, v2, v9
	v_mul_hi_u32 v14, v2, v12
	v_mul_hi_u32 v15, v2, v9
	;; [unrolled: 1-line block ×3, first 2 shown]
	v_mul_lo_u32 v12, v6, v12
	v_mul_hi_u32 v10, v6, v9
	v_add_co_u32_e32 v13, vcc, v14, v13
	v_addc_co_u32_e32 v14, vcc, 0, v15, vcc
	v_mul_lo_u32 v9, v6, v9
	v_add_co_u32_e32 v12, vcc, v13, v12
	v_addc_co_u32_e32 v11, vcc, v14, v11, vcc
	v_addc_co_u32_e32 v10, vcc, 0, v10, vcc
	v_add_co_u32_e32 v9, vcc, v11, v9
	v_addc_co_u32_e32 v10, vcc, 0, v10, vcc
	v_add_co_u32_e32 v2, vcc, v2, v9
	v_addc_co_u32_e32 v6, vcc, v6, v10, vcc
	v_mad_u64_u32 v[9:10], s[0:1], v7, v6, 0
	v_mul_hi_u32 v11, v7, v2
	v_add_co_u32_e32 v13, vcc, v11, v9
	v_addc_co_u32_e32 v14, vcc, 0, v10, vcc
	v_mad_u64_u32 v[9:10], s[0:1], v8, v2, 0
	v_mad_u64_u32 v[11:12], s[0:1], v8, v6, 0
	v_add_co_u32_e32 v2, vcc, v13, v9
	v_addc_co_u32_e32 v2, vcc, v14, v10, vcc
	v_addc_co_u32_e32 v6, vcc, 0, v12, vcc
	v_add_co_u32_e32 v2, vcc, v2, v11
	v_addc_co_u32_e32 v6, vcc, 0, v6, vcc
	v_mul_lo_u32 v11, s21, v2
	v_mul_lo_u32 v12, s20, v6
	v_mad_u64_u32 v[9:10], s[0:1], s20, v2, 0
	v_add3_u32 v10, v10, v12, v11
	v_sub_u32_e32 v11, v8, v10
	v_mov_b32_e32 v12, s21
	v_sub_co_u32_e32 v9, vcc, v7, v9
	v_subb_co_u32_e64 v11, s[0:1], v11, v12, vcc
	v_subrev_co_u32_e64 v12, s[0:1], s20, v9
	v_subbrev_co_u32_e64 v11, s[0:1], 0, v11, s[0:1]
	v_cmp_le_u32_e64 s[0:1], s21, v11
	v_cndmask_b32_e64 v13, 0, -1, s[0:1]
	v_cmp_le_u32_e64 s[0:1], s20, v12
	v_cndmask_b32_e64 v12, 0, -1, s[0:1]
	v_cmp_eq_u32_e64 s[0:1], s21, v11
	v_cndmask_b32_e64 v11, v13, v12, s[0:1]
	v_add_co_u32_e64 v12, s[0:1], 2, v2
	v_addc_co_u32_e64 v13, s[0:1], 0, v6, s[0:1]
	v_add_co_u32_e64 v14, s[0:1], 1, v2
	v_addc_co_u32_e64 v15, s[0:1], 0, v6, s[0:1]
	v_subb_co_u32_e32 v10, vcc, v8, v10, vcc
	v_cmp_ne_u32_e64 s[0:1], 0, v11
	v_cmp_le_u32_e32 vcc, s21, v10
	v_cndmask_b32_e64 v11, v15, v13, s[0:1]
	v_cndmask_b32_e64 v13, 0, -1, vcc
	v_cmp_le_u32_e32 vcc, s20, v9
	v_cndmask_b32_e64 v9, 0, -1, vcc
	v_cmp_eq_u32_e32 vcc, s21, v10
	v_cndmask_b32_e32 v9, v13, v9, vcc
	v_cmp_ne_u32_e32 vcc, 0, v9
	v_cndmask_b32_e32 v10, v6, v11, vcc
	v_cndmask_b32_e64 v6, v14, v12, s[0:1]
	v_cndmask_b32_e32 v9, v2, v6, vcc
.LBB0_4:                                ;   in Loop: Header=BB0_2 Depth=1
	s_andn2_saveexec_b64 s[0:1], s[22:23]
	s_cbranch_execz .LBB0_6
; %bb.5:                                ;   in Loop: Header=BB0_2 Depth=1
	v_cvt_f32_u32_e32 v2, s20
	s_sub_i32 s22, 0, s20
	v_rcp_iflag_f32_e32 v2, v2
	v_mul_f32_e32 v2, 0x4f7ffffe, v2
	v_cvt_u32_f32_e32 v2, v2
	v_mul_lo_u32 v6, s22, v2
	v_mul_hi_u32 v6, v2, v6
	v_add_u32_e32 v2, v2, v6
	v_mul_hi_u32 v2, v7, v2
	v_mul_lo_u32 v6, v2, s20
	v_add_u32_e32 v9, 1, v2
	v_sub_u32_e32 v6, v7, v6
	v_subrev_u32_e32 v10, s20, v6
	v_cmp_le_u32_e32 vcc, s20, v6
	v_cndmask_b32_e32 v6, v6, v10, vcc
	v_cndmask_b32_e32 v2, v2, v9, vcc
	v_add_u32_e32 v9, 1, v2
	v_cmp_le_u32_e32 vcc, s20, v6
	v_cndmask_b32_e32 v9, v2, v9, vcc
	v_mov_b32_e32 v10, v5
.LBB0_6:                                ;   in Loop: Header=BB0_2 Depth=1
	s_or_b64 exec, exec, s[0:1]
	v_mul_lo_u32 v2, v10, s20
	v_mul_lo_u32 v6, v9, s21
	v_mad_u64_u32 v[11:12], s[0:1], v9, s20, 0
	s_load_dwordx2 s[0:1], s[6:7], 0x0
	s_add_u32 s16, s16, 1
	v_add3_u32 v2, v12, v6, v2
	v_sub_co_u32_e32 v6, vcc, v7, v11
	v_subb_co_u32_e32 v2, vcc, v8, v2, vcc
	s_waitcnt lgkmcnt(0)
	v_mul_lo_u32 v2, s0, v2
	v_mul_lo_u32 v7, s1, v6
	v_mad_u64_u32 v[3:4], s[0:1], s0, v6, v[3:4]
	s_addc_u32 s17, s17, 0
	s_add_u32 s6, s6, 8
	v_add3_u32 v4, v7, v4, v2
	v_mov_b32_e32 v6, s10
	v_mov_b32_e32 v7, s11
	s_addc_u32 s7, s7, 0
	v_cmp_ge_u64_e32 vcc, s[16:17], v[6:7]
	s_add_u32 s18, s18, 8
	s_addc_u32 s19, s19, 0
	s_cbranch_vccnz .LBB0_8
; %bb.7:                                ;   in Loop: Header=BB0_2 Depth=1
	v_mov_b32_e32 v7, v9
	v_mov_b32_e32 v8, v10
	s_branch .LBB0_2
.LBB0_8:
	s_lshl_b64 s[0:1], s[10:11], 3
	s_add_u32 s0, s14, s0
	s_addc_u32 s1, s15, s1
	s_load_dwordx2 s[6:7], s[0:1], 0x0
	s_load_dwordx2 s[10:11], s[4:5], 0x20
                                        ; implicit-def: $vgpr26
                                        ; implicit-def: $vgpr27
                                        ; implicit-def: $vgpr31
                                        ; implicit-def: $vgpr33
                                        ; implicit-def: $vgpr34
                                        ; implicit-def: $vgpr28
                                        ; implicit-def: $vgpr35
                                        ; implicit-def: $vgpr29
                                        ; implicit-def: $vgpr30
                                        ; implicit-def: $vgpr32
	s_waitcnt lgkmcnt(0)
	v_mad_u64_u32 v[2:3], s[0:1], s6, v9, v[3:4]
	s_mov_b32 s0, 0x33333334
	v_mul_hi_u32 v4, v0, s0
	v_mul_lo_u32 v5, s6, v10
	v_mul_lo_u32 v6, s7, v9
	v_cmp_gt_u64_e32 vcc, s[10:11], v[9:10]
	v_mul_u32_u24_e32 v4, 5, v4
	v_cmp_le_u64_e64 s[0:1], s[10:11], v[9:10]
	v_sub_u32_e32 v14, v0, v4
	v_add3_u32 v3, v6, v3, v5
	v_add_u32_e32 v23, 5, v14
	v_add_u32_e32 v21, 10, v14
	v_add_u32_e32 v17, 30, v14
	v_add_u32_e32 v16, 35, v14
	v_or_b32_e32 v15, 40, v14
	v_add_u32_e32 v20, 15, v14
	v_add_u32_e32 v13, 45, v14
	;; [unrolled: 1-line block ×4, first 2 shown]
	s_and_saveexec_b64 s[4:5], s[0:1]
	s_xor_b64 s[0:1], exec, s[4:5]
; %bb.9:
	v_add_u32_e32 v26, 5, v14
	v_add_u32_e32 v27, 10, v14
	;; [unrolled: 1-line block ×4, first 2 shown]
	v_or_b32_e32 v34, 40, v14
	v_add_u32_e32 v28, 15, v14
	v_add_u32_e32 v35, 45, v14
	;; [unrolled: 1-line block ×4, first 2 shown]
	v_or_b32_e32 v32, 0x50, v14
; %bb.10:
	s_or_saveexec_b64 s[4:5], s[0:1]
	v_lshlrev_b64 v[8:9], 2, v[2:3]
	v_add_u32_e32 v22, 60, v14
	v_add_u32_e32 v24, 50, v14
	;; [unrolled: 1-line block ×3, first 2 shown]
                                        ; implicit-def: $vgpr56
                                        ; implicit-def: $vgpr53
                                        ; implicit-def: $vgpr57
                                        ; implicit-def: $vgpr52
                                        ; implicit-def: $vgpr60
                                        ; implicit-def: $vgpr51
                                        ; implicit-def: $vgpr61
                                        ; implicit-def: $vgpr50
                                        ; implicit-def: $vgpr63
                                        ; implicit-def: $vgpr40
                                        ; implicit-def: $vgpr64
                                        ; implicit-def: $vgpr55
                                        ; implicit-def: $vgpr65
                                        ; implicit-def: $vgpr0
                                        ; implicit-def: $vgpr66
                                        ; implicit-def: $vgpr4
                                        ; implicit-def: $vgpr67
                                        ; implicit-def: $vgpr5
                                        ; implicit-def: $vgpr68
                                        ; implicit-def: $vgpr41
                                        ; implicit-def: $vgpr43
                                        ; implicit-def: $vgpr38
                                        ; implicit-def: $vgpr44
                                        ; implicit-def: $vgpr10
                                        ; implicit-def: $vgpr45
                                        ; implicit-def: $vgpr12
                                        ; implicit-def: $vgpr47
                                        ; implicit-def: $vgpr37
                                        ; implicit-def: $vgpr48
                                        ; implicit-def: $vgpr70
                                        ; implicit-def: $vgpr59
                                        ; implicit-def: $vgpr58
                                        ; implicit-def: $vgpr62
                                        ; implicit-def: $vgpr49
                                        ; implicit-def: $vgpr42
                                        ; implicit-def: $vgpr54
                                        ; implicit-def: $vgpr6
                                        ; implicit-def: $vgpr2
                                        ; implicit-def: $vgpr3
                                        ; implicit-def: $vgpr69
                                        ; implicit-def: $vgpr7
                                        ; implicit-def: $vgpr39
                                        ; implicit-def: $vgpr11
                                        ; implicit-def: $vgpr36
                                        ; implicit-def: $vgpr46
	s_xor_b64 exec, exec, s[4:5]
	s_cbranch_execz .LBB0_12
; %bb.11:
	v_mad_u64_u32 v[2:3], s[0:1], s2, v14, 0
	v_add_u32_e32 v32, 0x4b, v14
	v_add_u32_e32 v36, 0x69, v14
	v_mov_b32_e32 v0, v3
	v_mad_u64_u32 v[3:4], s[0:1], s3, v14, v[0:1]
	v_mov_b32_e32 v0, s13
	v_add_co_u32_e64 v26, s[0:1], s12, v8
	v_addc_co_u32_e64 v27, s[0:1], v0, v9, s[0:1]
	v_mad_u64_u32 v[4:5], s[0:1], s2, v20, 0
	v_lshlrev_b64 v[2:3], 2, v[2:3]
	v_add_u32_e32 v40, 0x87, v14
	v_add_co_u32_e64 v2, s[0:1], v26, v2
	v_mov_b32_e32 v0, v5
	v_addc_co_u32_e64 v3, s[0:1], v27, v3, s[0:1]
	v_mad_u64_u32 v[5:6], s[0:1], s3, v20, v[0:1]
	v_mad_u64_u32 v[6:7], s[0:1], s2, v17, 0
	global_load_dword v70, v[2:3], off
	v_lshlrev_b64 v[2:3], 2, v[4:5]
	v_mov_b32_e32 v0, v7
	v_mad_u64_u32 v[4:5], s[0:1], s3, v17, v[0:1]
	v_mad_u64_u32 v[10:11], s[0:1], s2, v13, 0
	v_add_co_u32_e64 v2, s[0:1], v26, v2
	v_mov_b32_e32 v7, v4
	v_mov_b32_e32 v0, v11
	v_addc_co_u32_e64 v3, s[0:1], v27, v3, s[0:1]
	v_lshlrev_b64 v[4:5], 2, v[6:7]
	v_mad_u64_u32 v[6:7], s[0:1], s3, v13, v[0:1]
	v_mad_u64_u32 v[28:29], s[0:1], s2, v22, 0
	v_add_co_u32_e64 v4, s[0:1], v26, v4
	v_mov_b32_e32 v11, v6
	v_mov_b32_e32 v0, v29
	v_addc_co_u32_e64 v5, s[0:1], v27, v5, s[0:1]
	v_lshlrev_b64 v[6:7], 2, v[10:11]
	v_mad_u64_u32 v[10:11], s[0:1], s3, v22, v[0:1]
	v_mad_u64_u32 v[11:12], s[0:1], s2, v32, 0
	v_add_co_u32_e64 v30, s[0:1], v26, v6
	v_mov_b32_e32 v29, v10
	v_mov_b32_e32 v0, v12
	v_add_u32_e32 v10, 0x5a, v14
	v_addc_co_u32_e64 v31, s[0:1], v27, v7, s[0:1]
	v_lshlrev_b64 v[6:7], 2, v[28:29]
	v_mad_u64_u32 v[28:29], s[0:1], s3, v32, v[0:1]
	v_mad_u64_u32 v[32:33], s[0:1], s2, v10, 0
	v_add_co_u32_e64 v34, s[0:1], v26, v6
	v_mov_b32_e32 v12, v28
	v_mov_b32_e32 v0, v33
	v_addc_co_u32_e64 v35, s[0:1], v27, v7, s[0:1]
	v_lshlrev_b64 v[6:7], 2, v[11:12]
	v_mad_u64_u32 v[10:11], s[0:1], s3, v10, v[0:1]
	v_mad_u64_u32 v[11:12], s[0:1], s2, v36, 0
	v_add_co_u32_e64 v28, s[0:1], v26, v6
	v_mov_b32_e32 v33, v10
	v_mov_b32_e32 v0, v12
	v_or_b32_e32 v10, 0x78, v14
	v_addc_co_u32_e64 v29, s[0:1], v27, v7, s[0:1]
	v_lshlrev_b64 v[6:7], 2, v[32:33]
	v_mad_u64_u32 v[32:33], s[0:1], s3, v36, v[0:1]
	v_mad_u64_u32 v[36:37], s[0:1], s2, v10, 0
	v_add_co_u32_e64 v38, s[0:1], v26, v6
	v_mov_b32_e32 v12, v32
	v_mov_b32_e32 v0, v37
	v_addc_co_u32_e64 v39, s[0:1], v27, v7, s[0:1]
	v_lshlrev_b64 v[6:7], 2, v[11:12]
	v_mad_u64_u32 v[10:11], s[0:1], s3, v10, v[0:1]
	v_mad_u64_u32 v[11:12], s[0:1], s2, v40, 0
	v_add_co_u32_e64 v32, s[0:1], v26, v6
	v_mov_b32_e32 v37, v10
	v_mov_b32_e32 v0, v12
	v_addc_co_u32_e64 v33, s[0:1], v27, v7, s[0:1]
	v_lshlrev_b64 v[6:7], 2, v[36:37]
	v_mad_u64_u32 v[36:37], s[0:1], s3, v40, v[0:1]
	v_add_co_u32_e64 v42, s[0:1], v26, v6
	v_mov_b32_e32 v12, v36
	v_addc_co_u32_e64 v43, s[0:1], v27, v7, s[0:1]
	v_lshlrev_b64 v[6:7], 2, v[11:12]
	v_add_co_u32_e64 v44, s[0:1], v26, v6
	v_addc_co_u32_e64 v45, s[0:1], v27, v7, s[0:1]
	global_load_dword v7, v[32:33], off
	global_load_dword v10, v[38:39], off
	;; [unrolled: 1-line block ×3, first 2 shown]
	v_mad_u64_u32 v[40:41], s[0:1], s2, v23, 0
	global_load_dword v12, v[34:35], off
	global_load_dword v36, v[30:31], off
	;; [unrolled: 1-line block ×4, first 2 shown]
	v_mad_u64_u32 v[4:5], s[0:1], s2, v19, 0
	v_mov_b32_e32 v0, v41
	v_mad_u64_u32 v[28:29], s[0:1], s3, v23, v[0:1]
	v_mov_b32_e32 v0, v5
	v_or_b32_e32 v32, 0x50, v14
	v_mov_b32_e32 v41, v28
	v_lshlrev_b64 v[2:3], 2, v[40:41]
	v_add_u32_e32 v40, 0x8c, v14
	v_add_co_u32_e64 v2, s[0:1], v26, v2
	v_addc_co_u32_e64 v3, s[0:1], v27, v3, s[0:1]
	v_mad_u64_u32 v[28:29], s[0:1], s2, v16, 0
	v_mad_u64_u32 v[5:6], s[0:1], s3, v19, v[0:1]
	v_mov_b32_e32 v0, v29
	global_load_dword v38, v[42:43], off
	global_load_dword v39, v[44:45], off
	;; [unrolled: 1-line block ×3, first 2 shown]
	v_lshlrev_b64 v[2:3], 2, v[4:5]
	v_mad_u64_u32 v[4:5], s[0:1], s3, v16, v[0:1]
	v_mad_u64_u32 v[5:6], s[0:1], s2, v24, 0
	v_add_co_u32_e64 v30, s[0:1], v26, v2
	v_mov_b32_e32 v29, v4
	v_mov_b32_e32 v0, v6
	v_add_u32_e32 v4, 0x41, v14
	v_addc_co_u32_e64 v31, s[0:1], v27, v3, s[0:1]
	v_lshlrev_b64 v[2:3], 2, v[28:29]
	v_mad_u64_u32 v[28:29], s[0:1], s3, v24, v[0:1]
	v_mad_u64_u32 v[33:34], s[0:1], s2, v4, 0
	v_add_co_u32_e64 v42, s[0:1], v26, v2
	v_mov_b32_e32 v6, v28
	v_mov_b32_e32 v0, v34
	v_addc_co_u32_e64 v43, s[0:1], v27, v3, s[0:1]
	v_lshlrev_b64 v[2:3], 2, v[5:6]
	v_mad_u64_u32 v[4:5], s[0:1], s3, v4, v[0:1]
	v_mad_u64_u32 v[5:6], s[0:1], s2, v32, 0
	v_add_co_u32_e64 v28, s[0:1], v26, v2
	v_mov_b32_e32 v34, v4
	v_mov_b32_e32 v0, v6
	v_addc_co_u32_e64 v29, s[0:1], v27, v3, s[0:1]
	v_lshlrev_b64 v[2:3], 2, v[33:34]
	v_mad_u64_u32 v[33:34], s[0:1], s3, v32, v[0:1]
	v_add_u32_e32 v4, 0x5f, v14
	v_mad_u64_u32 v[34:35], s[0:1], s2, v4, 0
	v_add_co_u32_e64 v44, s[0:1], v26, v2
	v_mov_b32_e32 v6, v33
	v_mov_b32_e32 v0, v35
	v_addc_co_u32_e64 v45, s[0:1], v27, v3, s[0:1]
	v_lshlrev_b64 v[2:3], 2, v[5:6]
	v_mad_u64_u32 v[4:5], s[0:1], s3, v4, v[0:1]
	v_add_co_u32_e64 v2, s[0:1], v26, v2
	v_mov_b32_e32 v35, v4
	v_add_u32_e32 v6, 0x6e, v14
	v_addc_co_u32_e64 v3, s[0:1], v27, v3, s[0:1]
	v_lshlrev_b64 v[4:5], 2, v[34:35]
	v_mad_u64_u32 v[33:34], s[0:1], s2, v6, 0
	v_add_co_u32_e64 v4, s[0:1], v26, v4
	v_mov_b32_e32 v0, v34
	v_addc_co_u32_e64 v5, s[0:1], v27, v5, s[0:1]
	v_mad_u64_u32 v[34:35], s[0:1], s3, v6, v[0:1]
	v_add_u32_e32 v35, 0x7d, v14
	v_mad_u64_u32 v[47:48], s[0:1], s2, v35, 0
	global_load_dword v0, v[4:5], off
	v_mov_b32_e32 v6, v48
	global_load_dword v2, v[2:3], off
	v_lshlrev_b64 v[4:5], 2, v[33:34]
	s_waitcnt vmcnt(11)
	v_mad_u64_u32 v[33:34], s[0:1], s3, v35, v[6:7]
	v_mad_u64_u32 v[34:35], s[0:1], s2, v40, 0
	v_add_co_u32_e64 v51, s[0:1], v26, v4
	v_mov_b32_e32 v48, v33
	v_mov_b32_e32 v6, v35
	v_addc_co_u32_e64 v52, s[0:1], v27, v5, s[0:1]
	v_lshlrev_b64 v[4:5], 2, v[47:48]
	v_mad_u64_u32 v[47:48], s[0:1], s3, v40, v[6:7]
	v_add_co_u32_e64 v56, s[0:1], v26, v4
	v_mov_b32_e32 v35, v47
	v_addc_co_u32_e64 v57, s[0:1], v27, v5, s[0:1]
	v_lshlrev_b64 v[4:5], 2, v[34:35]
	v_mad_u64_u32 v[33:34], s[0:1], s2, v21, 0
	v_add_co_u32_e64 v47, s[0:1], v26, v4
	v_mov_b32_e32 v3, v34
	v_addc_co_u32_e64 v48, s[0:1], v27, v5, s[0:1]
	v_mad_u64_u32 v[34:35], s[0:1], s3, v21, v[3:4]
	global_load_dword v4, v[44:45], off
	global_load_dword v3, v[28:29], off
	;; [unrolled: 1-line block ×4, first 2 shown]
	v_mad_u64_u32 v[30:31], s[0:1], s2, v18, 0
	v_lshlrev_b64 v[28:29], 2, v[33:34]
	s_waitcnt vmcnt(6)
	v_lshrrev_b32_e32 v68, 16, v41
	v_add_co_u32_e64 v28, s[0:1], v26, v28
	v_mov_b32_e32 v6, v31
	v_addc_co_u32_e64 v29, s[0:1], v27, v29, s[0:1]
	v_mad_u64_u32 v[33:34], s[0:1], s3, v18, v[6:7]
	v_mad_u64_u32 v[34:35], s[0:1], s2, v15, 0
	v_mov_b32_e32 v31, v33
	global_load_dword v6, v[47:48], off
	global_load_dword v40, v[28:29], off
	v_lshlrev_b64 v[28:29], 2, v[30:31]
	v_mov_b32_e32 v30, v35
	v_mad_u64_u32 v[30:31], s[0:1], s3, v15, v[30:31]
	v_mad_u64_u32 v[42:43], s[0:1], s2, v25, 0
	v_add_co_u32_e64 v28, s[0:1], v26, v28
	v_mov_b32_e32 v35, v30
	v_mov_b32_e32 v33, v43
	v_addc_co_u32_e64 v29, s[0:1], v27, v29, s[0:1]
	v_lshlrev_b64 v[30:31], 2, v[34:35]
	v_mad_u64_u32 v[33:34], s[0:1], s3, v25, v[33:34]
	v_add_co_u32_e64 v30, s[0:1], v26, v30
	v_mov_b32_e32 v43, v33
	v_lshlrev_b64 v[33:34], 2, v[42:43]
	v_add_u32_e32 v42, 0x46, v14
	v_addc_co_u32_e64 v31, s[0:1], v27, v31, s[0:1]
	v_mad_u64_u32 v[43:44], s[0:1], s2, v42, 0
	v_add_co_u32_e64 v33, s[0:1], v26, v33
	v_mov_b32_e32 v35, v44
	v_addc_co_u32_e64 v34, s[0:1], v27, v34, s[0:1]
	v_mad_u64_u32 v[44:45], s[0:1], s3, v42, v[35:36]
	global_load_dword v49, v[33:34], off
	global_load_dword v50, v[30:31], off
	;; [unrolled: 1-line block ×5, first 2 shown]
	v_add_u32_e32 v33, 0x55, v14
	v_mad_u64_u32 v[30:31], s[0:1], s2, v33, 0
	v_lshlrev_b64 v[28:29], 2, v[43:44]
	v_add_u32_e32 v43, 0x64, v14
	v_add_co_u32_e64 v28, s[0:1], v26, v28
	v_addc_co_u32_e64 v29, s[0:1], v27, v29, s[0:1]
	v_mad_u64_u32 v[33:34], s[0:1], s3, v33, v[31:32]
	v_mad_u64_u32 v[34:35], s[0:1], s2, v43, 0
	v_mov_b32_e32 v31, v33
	global_load_dword v51, v[28:29], off
	v_lshlrev_b64 v[28:29], 2, v[30:31]
	v_mov_b32_e32 v30, v35
	v_mad_u64_u32 v[30:31], s[0:1], s3, v43, v[30:31]
	v_add_co_u32_e64 v28, s[0:1], v26, v28
	v_mov_b32_e32 v35, v30
	v_lshlrev_b64 v[30:31], 2, v[34:35]
	v_addc_co_u32_e64 v29, s[0:1], v27, v29, s[0:1]
	v_add_co_u32_e64 v30, s[0:1], v26, v30
	v_add_u32_e32 v35, 0x73, v14
	v_addc_co_u32_e64 v31, s[0:1], v27, v31, s[0:1]
	v_mad_u64_u32 v[33:34], s[0:1], s2, v35, 0
	v_add_u32_e32 v45, 0x82, v14
	v_mad_u64_u32 v[43:44], s[0:1], s2, v45, 0
	v_mad_u64_u32 v[34:35], s[0:1], s3, v35, v[34:35]
	v_mov_b32_e32 v35, v44
	v_mad_u64_u32 v[44:45], s[0:1], s3, v45, v[35:36]
	v_add_u32_e32 v35, 0x91, v14
	global_load_dword v52, v[30:31], off
	v_lshlrev_b64 v[30:31], 2, v[33:34]
	v_lshlrev_b64 v[33:34], 2, v[43:44]
	v_mad_u64_u32 v[43:44], s[0:1], s2, v35, 0
	v_add_co_u32_e64 v33, s[0:1], v26, v33
	v_addc_co_u32_e64 v34, s[0:1], v27, v34, s[0:1]
	global_load_dword v53, v[33:34], off
	v_mov_b32_e32 v33, v44
	v_mad_u64_u32 v[33:34], s[0:1], s3, v35, v[33:34]
	v_add_co_u32_e64 v30, s[0:1], v26, v30
	v_mov_b32_e32 v44, v33
	v_lshlrev_b64 v[33:34], 2, v[43:44]
	v_addc_co_u32_e64 v31, s[0:1], v27, v31, s[0:1]
	v_add_co_u32_e64 v26, s[0:1], v26, v33
	v_addc_co_u32_e64 v27, s[0:1], v27, v34, s[0:1]
	global_load_dword v58, v[26:27], off
	global_load_dword v59, v[30:31], off
	;; [unrolled: 1-line block ×3, first 2 shown]
	v_lshrrev_b32_e32 v48, 16, v70
	v_lshrrev_b32_e32 v47, 16, v37
	;; [unrolled: 1-line block ×5, first 2 shown]
	s_waitcnt vmcnt(14)
	v_lshrrev_b32_e32 v67, 16, v5
	v_lshrrev_b32_e32 v66, 16, v4
	;; [unrolled: 1-line block ×3, first 2 shown]
	s_waitcnt vmcnt(11)
	v_lshrrev_b32_e32 v63, 16, v40
	v_mov_b32_e32 v30, v18
	v_mov_b32_e32 v29, v19
	s_waitcnt vmcnt(9)
	v_lshrrev_b32_e32 v61, 16, v50
	v_mov_b32_e32 v35, v13
	s_waitcnt vmcnt(7)
	v_lshrrev_b32_e32 v64, 16, v55
	v_mov_b32_e32 v28, v20
	v_mov_b32_e32 v34, v15
	;; [unrolled: 1-line block ×6, first 2 shown]
	s_waitcnt vmcnt(5)
	v_lshrrev_b32_e32 v60, 16, v51
	s_waitcnt vmcnt(4)
	v_lshrrev_b32_e32 v57, 16, v52
	;; [unrolled: 2-line block ×3, first 2 shown]
.LBB0_12:
	s_or_b64 exec, exec, s[4:5]
	s_mov_b32 s0, 0xaaaaaaab
	v_mul_hi_u32 v71, v1, s0
	v_add_f16_e32 v72, v37, v70
	v_add_f16_e32 v73, v10, v12
	;; [unrolled: 1-line block ×3, first 2 shown]
	v_lshrrev_b32_e32 v71, 3, v71
	v_mul_lo_u32 v71, v71, 12
	v_fma_f16 v73, v73, -0.5, v70
	v_add_f16_e32 v72, v10, v72
	s_movk_i32 s4, 0x3b9c
	v_sub_u32_e32 v1, v1, v71
	v_mul_u32_u24_e32 v81, 0x96, v1
	v_sub_f16_e32 v1, v47, v43
	v_add_f16_e32 v75, v38, v72
	v_fma_f16 v71, v1, s4, v73
	v_sub_f16_e32 v72, v45, v44
	s_movk_i32 s5, 0x38b4
	v_sub_f16_e32 v74, v37, v12
	v_sub_f16_e32 v76, v38, v10
	v_fma_f16 v71, v72, s5, v71
	v_add_f16_e32 v74, v76, v74
	s_movk_i32 s6, 0x34f2
	s_mov_b32 s7, 0xbb9c
	v_fma_f16 v76, v74, s6, v71
	v_fma_f16 v71, v1, s7, v73
	s_mov_b32 s10, 0xb8b4
	v_fma_f16 v71, v72, s10, v71
	v_fma_f16 v78, v74, s6, v71
	v_add_f16_e32 v71, v38, v37
	v_fma_f16 v70, v71, -0.5, v70
	v_fma_f16 v71, v72, s7, v70
	v_sub_f16_e32 v73, v12, v37
	v_sub_f16_e32 v74, v10, v38
	v_fma_f16 v70, v72, s4, v70
	v_fma_f16 v71, v1, s5, v71
	v_add_f16_e32 v73, v74, v73
	v_fma_f16 v1, v1, s10, v70
	v_fma_f16 v77, v73, s6, v71
	v_fma_f16 v73, v73, s6, v1
	v_add_f16_e32 v1, v36, v46
	v_add_f16_e32 v1, v11, v1
	;; [unrolled: 1-line block ×3, first 2 shown]
	v_pk_add_f16 v72, v36, v11 neg_lo:[0,1] neg_hi:[0,1]
	v_pk_add_f16 v74, v39, v7 neg_lo:[0,1] neg_hi:[0,1]
	v_add_f16_e32 v79, v39, v1
	v_add_f16_e32 v1, v7, v11
	v_pk_add_f16 v80, v36, v39 neg_lo:[0,1] neg_hi:[0,1]
	v_pk_add_f16 v82, v11, v7 neg_lo:[0,1] neg_hi:[0,1]
	v_pk_add_f16 v72, v74, v72
	s_mov_b32 s0, 0xffff
	v_fma_f16 v1, v1, -0.5, v46
	v_lshrrev_b32_e32 v71, 16, v80
	v_bfi_b32 v72, s0, v72, v82
	s_mov_b32 s1, 0x38b434f2
	v_fma_f16 v70, v71, s4, v1
	v_pk_mul_f16 v72, v72, s1
	v_fma_f16 v1, v71, s7, v1
	v_add_f16_sdwa v70, v72, v70 dst_sel:DWORD dst_unused:UNUSED_PAD src0_sel:WORD_1 src1_sel:DWORD
	v_sub_f16_sdwa v1, v1, v72 dst_sel:DWORD dst_unused:UNUSED_PAD src0_sel:DWORD src1_sel:WORD_1
	v_add_f16_e32 v70, v72, v70
	v_add_f16_e32 v1, v72, v1
	v_lshrrev_b32_e32 v71, 16, v46
	v_add_f16_sdwa v72, v7, v11 dst_sel:DWORD dst_unused:UNUSED_PAD src0_sel:WORD_1 src1_sel:WORD_1
	v_fma_f16 v74, v72, -0.5, v71
	v_fma_f16 v72, v80, s7, v74
	v_sub_f16_sdwa v85, v36, v11 dst_sel:DWORD dst_unused:UNUSED_PAD src0_sel:WORD_1 src1_sel:WORD_1
	v_sub_f16_sdwa v86, v39, v7 dst_sel:DWORD dst_unused:UNUSED_PAD src0_sel:WORD_1 src1_sel:WORD_1
	v_fma_f16 v74, v80, s4, v74
	v_fma_f16 v72, v82, s10, v72
	v_add_f16_e32 v85, v86, v85
	v_fma_f16 v74, v82, s5, v74
	v_fma_f16 v72, v85, s6, v72
	;; [unrolled: 1-line block ×3, first 2 shown]
	v_add_f16_e32 v85, v79, v75
	v_mul_f16_e32 v86, 0x3a79, v70
	v_mul_f16_e32 v88, 0x3a79, v1
	v_sub_f16_e32 v90, v75, v79
	v_add_f16_e32 v75, v0, v4
	v_fma_f16 v86, v72, s5, v86
	v_fma_f16 v88, v74, s5, -v88
	v_fma_f16 v75, v75, -0.5, v41
	v_sub_f16_e32 v79, v67, v64
	v_add_f16_e32 v87, v76, v86
	v_add_f16_e32 v89, v78, v88
	v_sub_f16_e32 v86, v76, v86
	v_sub_f16_e32 v78, v78, v88
	v_fma_f16 v76, v79, s4, v75
	v_sub_f16_e32 v88, v66, v65
	v_sub_f16_e32 v91, v5, v4
	;; [unrolled: 1-line block ×3, first 2 shown]
	v_fma_f16 v75, v79, s7, v75
	v_fma_f16 v76, v88, s5, v76
	v_add_f16_e32 v91, v92, v91
	v_fma_f16 v75, v88, s10, v75
	v_fma_f16 v92, v91, s6, v76
	;; [unrolled: 1-line block ×3, first 2 shown]
	v_add_f16_e32 v75, v55, v5
	v_fma_f16 v75, v75, -0.5, v41
	v_sub_f16_e32 v76, v4, v5
	v_sub_f16_e32 v93, v0, v55
	v_pk_add_f16 v83, v39, v36
	v_add_f16_e32 v93, v93, v76
	v_fma_f16 v76, v88, s7, v75
	v_fma_f16 v75, v88, s4, v75
	;; [unrolled: 1-line block ×4, first 2 shown]
	v_add_f16_e32 v79, v54, v2
	v_pk_fma_f16 v46, v83, 0.5, v46 op_sel_hi:[1,0,1] neg_lo:[1,0,0] neg_hi:[1,0,0]
	v_pk_mul_f16 v82, v82, s4 op_sel_hi:[1,0]
	v_pk_add_f16 v84, v11, v36 neg_lo:[0,1] neg_hi:[0,1]
	v_pk_add_f16 v88, v7, v39 neg_lo:[0,1] neg_hi:[0,1]
	v_fma_f16 v76, v93, s6, v76
	v_fma_f16 v75, v93, s6, v75
	v_fma_f16 v93, v79, -0.5, v69
	v_pk_add_f16 v79, v82, v46 op_sel:[1,0] op_sel_hi:[0,1]
	v_pk_mul_f16 v80, v80, s5 op_sel_hi:[1,0]
	v_pk_add_f16 v46, v46, v82 op_sel:[0,1] op_sel_hi:[1,0] neg_lo:[0,1] neg_hi:[0,1]
	v_pk_add_f16 v79, v79, v80 op_sel:[0,1] op_sel_hi:[1,0] neg_lo:[0,1] neg_hi:[0,1]
	v_pk_add_f16 v83, v88, v84
	v_pk_add_f16 v46, v80, v46 op_sel:[1,0] op_sel_hi:[0,1]
	v_pk_fma_f16 v79, v83, s6, v79 op_sel_hi:[1,0,1]
	v_pk_fma_f16 v80, v83, s6, v46 op_sel_hi:[1,0,1]
	v_mul_f16_e32 v46, 0x34f2, v80
	v_lshrrev_b32_e32 v82, 16, v79
	v_mul_f16_e32 v83, 0x34f2, v79
	v_lshrrev_b32_e32 v84, 16, v80
	v_fma_f16 v82, v82, s4, v46
	v_fma_f16 v83, v84, s4, -v83
	v_add_f16_e32 v46, v77, v82
	v_add_f16_e32 v84, v73, v83
	v_lshlrev_b32_e32 v81, 1, v81
	v_pack_b32_f16 v84, v46, v84
	v_mul_u32_u24_e32 v88, 10, v14
	v_add_u32_e32 v46, 0, v81
	v_pack_b32_f16 v85, v85, v87
	v_lshl_add_u32 v96, v88, 1, v46
	ds_write2_b32 v96, v85, v84 offset1:1
	v_pk_add_f16 v84, v3, v2 neg_lo:[0,1] neg_hi:[0,1]
	v_pk_add_f16 v85, v6, v54 neg_lo:[0,1] neg_hi:[0,1]
	;; [unrolled: 1-line block ×3, first 2 shown]
	v_pk_add_f16 v84, v85, v84
	v_pk_add_f16 v88, v2, v54 neg_lo:[0,1] neg_hi:[0,1]
	v_lshrrev_b32_e32 v85, 16, v94
	v_bfi_b32 v84, s0, v84, v88
	v_fma_f16 v87, v85, s4, v93
	v_fma_f16 v85, v85, s7, v93
	v_pk_mul_f16 v84, v84, s1
	v_add_f16_sdwa v87, v84, v87 dst_sel:DWORD dst_unused:UNUSED_PAD src0_sel:WORD_1 src1_sel:DWORD
	v_sub_f16_sdwa v85, v85, v84 dst_sel:DWORD dst_unused:UNUSED_PAD src0_sel:DWORD src1_sel:WORD_1
	v_sub_f16_e32 v77, v77, v82
	v_add_f16_e32 v102, v84, v87
	v_add_f16_e32 v101, v84, v85
	v_pack_b32_f16 v77, v86, v77
	v_lshrrev_b32_e32 v104, 16, v69
	v_pack_b32_f16 v84, v89, v90
	v_add_f16_sdwa v85, v54, v2 dst_sel:DWORD dst_unused:UNUSED_PAD src0_sel:WORD_1 src1_sel:WORD_1
	v_fma_f16 v85, v85, -0.5, v104
	ds_write2_b32 v96, v84, v77 offset0:2 offset1:3
	v_sub_f16_sdwa v77, v3, v2 dst_sel:DWORD dst_unused:UNUSED_PAD src0_sel:WORD_1 src1_sel:WORD_1
	v_sub_f16_sdwa v84, v6, v54 dst_sel:DWORD dst_unused:UNUSED_PAD src0_sel:WORD_1 src1_sel:WORD_1
	v_add_f16_e32 v77, v84, v77
	v_fma_f16 v84, v94, s7, v85
	v_fma_f16 v84, v88, s10, v84
	;; [unrolled: 1-line block ×4, first 2 shown]
	v_pk_add_f16 v87, v6, v3
	v_add_f16_e32 v82, v3, v69
	v_fma_f16 v84, v88, s5, v84
	v_pk_fma_f16 v69, v87, 0.5, v69 op_sel_hi:[1,0,1] neg_lo:[1,0,0] neg_hi:[1,0,0]
	v_pk_add_f16 v87, v2, v3 neg_lo:[0,1] neg_hi:[0,1]
	v_pk_add_f16 v89, v54, v6 neg_lo:[0,1] neg_hi:[0,1]
	v_pk_mul_f16 v88, v88, s4 op_sel_hi:[1,0]
	v_pk_add_f16 v87, v89, v87
	v_pk_add_f16 v89, v88, v69 op_sel:[1,0] op_sel_hi:[0,1]
	v_pk_add_f16 v69, v69, v88 op_sel:[0,1] op_sel_hi:[1,0] neg_lo:[0,1] neg_hi:[0,1]
	v_pk_mul_f16 v88, v94, s5 op_sel_hi:[1,0]
	v_add_f16_e32 v41, v5, v41
	v_pk_add_f16 v89, v89, v88 op_sel:[0,1] op_sel_hi:[1,0] neg_lo:[0,1] neg_hi:[0,1]
	v_pk_add_f16 v69, v88, v69 op_sel:[1,0] op_sel_hi:[0,1]
	v_add_f16_e32 v41, v4, v41
	v_add_f16_e32 v82, v2, v82
	v_pk_fma_f16 v105, v87, s6, v89 op_sel_hi:[1,0,1]
	v_pk_fma_f16 v106, v87, s6, v69 op_sel_hi:[1,0,1]
	v_add_f16_e32 v41, v0, v41
	v_add_f16_e32 v82, v54, v82
	v_mul_f16_e32 v69, 0x34f2, v106
	v_lshrrev_b32_e32 v87, 16, v105
	v_add_f16_e32 v41, v55, v41
	v_add_f16_e32 v82, v6, v82
	v_fma_f16 v69, v87, s4, v69
	v_mul_f16_e32 v87, 0x34f2, v105
	v_lshrrev_b32_e32 v88, 16, v106
	v_sub_f16_e32 v73, v73, v83
	v_fma_f16 v108, v77, s6, v84
	v_add_f16_e32 v77, v82, v41
	v_sub_f16_e32 v41, v41, v82
	v_mul_f16_e32 v82, 0x3a79, v102
	v_fma_f16 v87, v88, s4, -v87
	v_pack_b32_f16 v73, v73, v78
	v_fma_f16 v82, v107, s5, v82
	ds_write_b32 v96, v73 offset:16
	v_add_f16_e32 v73, v76, v69
	v_add_f16_e32 v78, v75, v87
	;; [unrolled: 1-line block ×3, first 2 shown]
	v_pack_b32_f16 v73, v73, v78
	v_mul_i32_i24_e32 v78, 10, v26
	v_pack_b32_f16 v77, v77, v84
	v_lshl_add_u32 v100, v78, 1, v46
	v_mul_f16_e32 v85, 0x3a79, v101
	ds_write2_b32 v100, v77, v73 offset1:1
	v_sub_f16_e32 v73, v50, v51
	v_sub_f16_e32 v77, v53, v52
	v_fma_f16 v85, v108, s5, -v85
	v_add_f16_e32 v73, v77, v73
	v_sub_f16_e32 v77, v51, v50
	v_sub_f16_e32 v78, v52, v53
	;; [unrolled: 1-line block ×3, first 2 shown]
	v_add_f16_e32 v86, v91, v85
	v_add_f16_e32 v77, v78, v77
	;; [unrolled: 1-line block ×3, first 2 shown]
	v_sub_f16_e32 v69, v76, v69
	v_fma_f16 v78, v78, -0.5, v40
	v_sub_f16_e32 v84, v60, v57
	v_pack_b32_f16 v69, v82, v69
	v_pack_b32_f16 v41, v86, v41
	v_sub_f16_e32 v83, v61, v56
	v_fma_f16 v88, v84, s7, v78
	v_fma_f16 v78, v84, s4, v78
	ds_write2_b32 v100, v41, v69 offset0:2 offset1:3
	s_waitcnt vmcnt(0)
	v_pk_add_f16 v41, v49, v62 neg_lo:[0,1] neg_hi:[0,1]
	v_pk_add_f16 v69, v58, v59 neg_lo:[0,1] neg_hi:[0,1]
	v_fma_f16 v88, v83, s5, v88
	v_fma_f16 v78, v83, s10, v78
	v_pk_add_f16 v41, v69, v41
	v_sub_f16_sdwa v69, v49, v62 dst_sel:DWORD dst_unused:UNUSED_PAD src0_sel:WORD_1 src1_sel:WORD_1
	v_sub_f16_sdwa v76, v58, v59 dst_sel:DWORD dst_unused:UNUSED_PAD src0_sel:WORD_1 src1_sel:WORD_1
	v_fma_f16 v88, v77, s6, v88
	v_fma_f16 v77, v77, s6, v78
	v_add_f16_e32 v69, v76, v69
	v_pk_add_f16 v76, v62, v49 neg_lo:[0,1] neg_hi:[0,1]
	v_pk_add_f16 v78, v59, v58 neg_lo:[0,1] neg_hi:[0,1]
	v_pk_add_f16 v76, v78, v76
	v_pk_add_f16 v78, v58, v49
	v_pk_add_f16 v82, v62, v59 neg_lo:[0,1] neg_hi:[0,1]
	v_pk_fma_f16 v78, v78, 0.5, v42 op_sel_hi:[1,0,1] neg_lo:[1,0,0] neg_hi:[1,0,0]
	v_pk_mul_f16 v86, v82, s4 op_sel_hi:[1,0]
	v_pk_add_f16 v89, v86, v78 op_sel:[1,0] op_sel_hi:[0,1]
	v_pk_add_f16 v78, v78, v86 op_sel:[0,1] op_sel_hi:[1,0] neg_lo:[0,1] neg_hi:[0,1]
	v_pk_add_f16 v86, v49, v58 neg_lo:[0,1] neg_hi:[0,1]
	v_pk_mul_f16 v90, v86, s5 op_sel_hi:[1,0]
	v_pk_add_f16 v89, v89, v90 op_sel:[0,1] op_sel_hi:[1,0] neg_lo:[0,1] neg_hi:[0,1]
	v_pk_add_f16 v78, v90, v78 op_sel:[1,0] op_sel_hi:[0,1]
	v_sub_f16_e32 v114, v37, v38
	v_sub_f16_e32 v12, v12, v10
	;; [unrolled: 1-line block ×4, first 2 shown]
	v_pk_fma_f16 v109, v76, s6, v89 op_sel_hi:[1,0,1]
	v_pk_fma_f16 v110, v76, s6, v78 op_sel_hi:[1,0,1]
	v_add_f16_e32 v115, v37, v10
	v_add_f16_e32 v37, v47, v48
	v_mul_f16_e32 v76, 0x34f2, v110
	v_lshrrev_b32_e32 v78, 16, v109
	v_add_f16_e32 v37, v45, v37
	v_sub_f16_e32 v85, v91, v85
	v_fma_f16 v76, v78, s4, v76
	v_mul_f16_e32 v78, 0x34f2, v109
	v_lshrrev_b32_e32 v89, 16, v110
	v_sub_f16_e32 v75, v75, v87
	v_add_f16_e32 v90, v59, v62
	v_add_f16_e32 v37, v44, v37
	v_fma_f16 v78, v89, s4, -v78
	v_pack_b32_f16 v75, v75, v85
	v_fma_f16 v90, v90, -0.5, v42
	v_bfi_b32 v41, s0, v41, v82
	v_lshrrev_b32_e32 v91, 16, v86
	v_sub_f16_e32 v38, v45, v47
	v_add_f16_e32 v117, v43, v37
	v_sub_f16_e32 v37, v44, v43
	ds_write_b32 v100, v75 offset:16
	v_add_f16_e32 v75, v88, v76
	v_add_f16_e32 v85, v77, v78
	;; [unrolled: 1-line block ×3, first 2 shown]
	v_pk_mul_f16 v41, v41, s1
	v_lshrrev_b32_e32 v112, 16, v42
	v_add_f16_sdwa v42, v59, v62 dst_sel:DWORD dst_unused:UNUSED_PAD src0_sel:WORD_1 src1_sel:WORD_1
	v_add_f16_e32 v37, v37, v38
	v_fma_f16 v38, v91, s7, v90
	v_pack_b32_f16 v75, v75, v85
	v_add_f16_e32 v85, v52, v51
	v_fma_f16 v42, v42, -0.5, v112
	v_add_f16_e32 v10, v44, v45
	v_sub_f16_sdwa v38, v38, v41 dst_sel:DWORD dst_unused:UNUSED_PAD src0_sel:DWORD src1_sel:WORD_1
	v_fma_f16 v85, v85, -0.5, v40
	v_add_f16_e32 v40, v50, v40
	v_fma_f16 v92, v91, s4, v90
	v_fma_f16 v116, v10, -0.5, v48
	v_add_f16_e32 v10, v43, v47
	v_add_f16_e32 v118, v41, v38
	v_fma_f16 v38, v86, s4, v42
	v_add_f16_e32 v40, v51, v40
	v_add_f16_e32 v89, v62, v89
	v_add_f16_sdwa v92, v41, v92 dst_sel:DWORD dst_unused:UNUSED_PAD src0_sel:WORD_1 src1_sel:DWORD
	v_fma_f16 v10, v10, -0.5, v48
	v_add_f16_sdwa v36, v36, v71 dst_sel:DWORD dst_unused:UNUSED_PAD src0_sel:WORD_1 src1_sel:DWORD
	v_fma_f16 v38, v82, s5, v38
	v_add_f16_e32 v40, v52, v40
	v_add_f16_e32 v89, v59, v89
	;; [unrolled: 1-line block ×3, first 2 shown]
	v_fma_f16 v92, v86, s7, v42
	v_add_f16_sdwa v11, v11, v36 dst_sel:DWORD dst_unused:UNUSED_PAD src0_sel:WORD_1 src1_sel:DWORD
	v_fma_f16 v120, v69, s6, v38
	v_fma_f16 v38, v12, s4, v10
	;; [unrolled: 1-line block ×3, first 2 shown]
	v_add_f16_e32 v40, v53, v40
	v_fma_f16 v87, v83, s4, v85
	v_add_f16_e32 v89, v58, v89
	v_fma_f16 v92, v82, s10, v92
	v_add_f16_sdwa v7, v7, v11 dst_sel:DWORD dst_unused:UNUSED_PAD src0_sel:WORD_1 src1_sel:DWORD
	v_fma_f16 v41, v114, s10, v38
	v_fma_f16 v43, v114, s5, v10
	;; [unrolled: 1-line block ×4, first 2 shown]
	v_mul_f16_e32 v92, 0x3a79, v111
	v_add_f16_e32 v93, v89, v40
	v_add_f16_sdwa v7, v39, v7 dst_sel:DWORD dst_unused:UNUSED_PAD src0_sel:WORD_1 src1_sel:DWORD
	v_fma_f16 v36, v83, s7, v85
	v_fma_f16 v39, v114, s7, v116
	v_mul_f16_e32 v42, 0x34f2, v37
	v_sub_f16_e32 v10, v40, v89
	v_pack_b32_f16 v40, v43, v41
	s_mov_b32 s14, 0x34f23b9c
	v_fma_f16 v87, v73, s6, v87
	v_fma_f16 v92, v113, s5, v92
	s_movk_i32 s1, 0x3a79
	v_mul_f16_e32 v11, 0xb8b4, v70
	v_fma_f16 v36, v84, s10, v36
	v_fma_f16 v39, v12, s10, v39
	v_mul_f16_e32 v37, 0x3a79, v118
	v_pk_add_f16 v121, v42, v40 op_sel_hi:[0,1]
	s_mov_b32 s11, 0x34f2bb9c
	v_pk_mul_f16 v42, v80, s14
	v_fma_f16 v114, v114, s4, v116
	v_add_f16_e32 v94, v87, v92
	v_fma_f16 v11, v72, s1, v11
	v_fma_f16 v36, v73, s6, v36
	;; [unrolled: 1-line block ×3, first 2 shown]
	v_fma_f16 v37, v120, s5, -v37
	v_pk_fma_f16 v122, v79, s11, v42 op_sel:[0,0,1] op_sel_hi:[1,1,0] neg_lo:[0,0,1] neg_hi:[0,0,1]
	v_fma_f16 v12, v12, s5, v114
	v_mul_f16_e32 v74, 0x3a79, v74
	v_pack_b32_f16 v93, v93, v94
	v_mul_i32_i24_e32 v94, 10, v27
	v_sub_f16_e32 v38, v87, v92
	v_add_f16_e32 v39, v36, v37
	v_sub_f16_e32 v44, v36, v37
	v_sub_f16_e32 v36, v88, v76
	v_add_f16_e32 v47, v119, v11
	v_fma_f16 v12, v115, s6, v12
	v_fma_f16 v1, v1, s10, -v74
	v_bfi_b32 v74, s0, v119, v121
	v_bfi_b32 v11, s0, v11, v122
	v_lshl_add_u32 v103, v94, 1, v46
	v_add_f16_e32 v45, v7, v117
	v_pack_b32_f16 v36, v38, v36
	v_pack_b32_f16 v37, v39, v10
	v_lshlrev_b32_e32 v10, 1, v14
	v_sub_f16_e32 v48, v77, v78
	v_sub_f16_e32 v7, v117, v7
	v_pk_add_f16 v11, v74, v11 neg_lo:[0,1] neg_hi:[0,1]
	v_add_f16_e32 v74, v12, v1
	ds_write2_b32 v103, v37, v36 offset0:2 offset1:3
	v_add_u32_e32 v37, v46, v10
	v_pack_b32_f16 v44, v48, v44
	v_pack_b32_f16 v7, v74, v7
	ds_write2_b32 v103, v93, v75 offset1:1
	v_lshl_add_u32 v38, v31, 1, v46
	v_add3_u32 v36, 0, v10, v81
	v_lshl_add_u32 v39, v26, 1, v46
	v_lshl_add_u32 v41, v33, 1, v46
	;; [unrolled: 1-line block ×5, first 2 shown]
	ds_write_b32 v103, v44 offset:16
	v_lshl_add_u32 v44, v35, 1, v46
	v_pack_b32_f16 v123, v45, v47
	v_lshl_add_u32 v45, v29, 1, v46
	s_waitcnt lgkmcnt(0)
	; wave barrier
	s_waitcnt lgkmcnt(0)
	v_lshl_add_u32 v47, v30, 1, v46
	ds_read_u16 v73, v37
	ds_read_u16 v98, v38
	ds_read_u16 v78, v36 offset:100
	ds_read_u16 v75, v36 offset:110
	;; [unrolled: 1-line block ×12, first 2 shown]
	ds_read_u16 v71, v40
	ds_read_u16 v94, v42
	ds_read_u16 v70, v43
	ds_read_u16 v87, v44
	ds_read_u16 v69, v45
	ds_read_u16 v48, v47
	ds_read_u16 v93, v36 offset:200
	ds_read_u16 v86, v36 offset:210
	;; [unrolled: 1-line block ×7, first 2 shown]
	ds_read_u16 v92, v41
	ds_read_u16 v72, v39
	ds_read_u16 v79, v36 offset:290
	s_waitcnt lgkmcnt(0)
	; wave barrier
	s_waitcnt lgkmcnt(0)
	ds_write2_b32 v96, v7, v11 offset0:2 offset1:3
	v_sub_f16_e32 v0, v4, v0
	v_sub_f16_e32 v4, v67, v66
	;; [unrolled: 1-line block ×3, first 2 shown]
	v_add_f16_e32 v4, v7, v4
	v_add_f16_e32 v7, v65, v66
	v_sub_f16_e32 v5, v5, v55
	v_fma_f16 v7, v7, -0.5, v68
	v_sub_f16_e32 v1, v12, v1
	v_fma_f16 v11, v5, s7, v7
	v_fma_f16 v7, v5, s4, v7
	v_add_f16_e32 v12, v67, v68
	v_fma_f16 v11, v0, s10, v11
	v_fma_f16 v7, v0, s5, v7
	v_add_f16_e32 v12, v66, v12
	;; [unrolled: 3-line block ×3, first 2 shown]
	v_add_f16_e32 v12, v65, v12
	v_fma_f16 v7, v7, -0.5, v68
	v_sub_f16_e32 v55, v66, v67
	v_add_f16_e32 v12, v64, v12
	v_sub_f16_e32 v64, v65, v64
	v_add_f16_sdwa v3, v3, v104 dst_sel:DWORD dst_unused:UNUSED_PAD src0_sel:WORD_1 src1_sel:DWORD
	v_add_f16_e32 v55, v64, v55
	v_fma_f16 v64, v0, s4, v7
	v_fma_f16 v0, v0, s7, v7
	v_add_f16_sdwa v2, v2, v3 dst_sel:DWORD dst_unused:UNUSED_PAD src0_sel:WORD_1 src1_sel:DWORD
	v_fma_f16 v7, v5, s10, v64
	v_fma_f16 v0, v5, s5, v0
	v_add_f16_sdwa v2, v54, v2 dst_sel:DWORD dst_unused:UNUSED_PAD src0_sel:WORD_1 src1_sel:DWORD
	v_mul_f16_e32 v5, 0x3a79, v108
	v_add_f16_sdwa v2, v6, v2 dst_sel:DWORD dst_unused:UNUSED_PAD src0_sel:WORD_1 src1_sel:DWORD
	v_fma_f16 v5, v101, s10, -v5
	v_add_f16_e32 v6, v2, v12
	v_sub_f16_e32 v2, v12, v2
	v_add_f16_e32 v12, v4, v5
	v_sub_f16_e32 v4, v4, v5
	v_sub_f16_e32 v5, v50, v53
	;; [unrolled: 1-line block ×5, first 2 shown]
	v_add_f16_e32 v51, v52, v51
	v_add_f16_e32 v52, v57, v60
	v_fma_f16 v52, v52, -0.5, v63
	v_fma_f16 v53, v5, s7, v52
	v_fma_f16 v52, v5, s4, v52
	;; [unrolled: 1-line block ×4, first 2 shown]
	v_add_f16_e32 v54, v61, v63
	v_fma_f16 v53, v51, s6, v53
	v_fma_f16 v51, v51, s6, v52
	v_add_f16_e32 v52, v56, v61
	v_add_f16_e32 v54, v60, v54
	v_fma_f16 v52, v52, -0.5, v63
	v_add_f16_e32 v54, v57, v54
	v_sub_f16_e32 v60, v60, v61
	v_add_f16_e32 v54, v56, v54
	v_sub_f16_e32 v56, v57, v56
	v_fma_f16 v57, v50, s4, v52
	v_fma_f16 v50, v50, s7, v52
	v_add_f16_sdwa v49, v49, v112 dst_sel:DWORD dst_unused:UNUSED_PAD src0_sel:WORD_1 src1_sel:DWORD
	v_add_f16_e32 v56, v56, v60
	v_fma_f16 v52, v5, s10, v57
	v_fma_f16 v5, v5, s5, v50
	v_add_f16_sdwa v49, v62, v49 dst_sel:DWORD dst_unused:UNUSED_PAD src0_sel:WORD_1 src1_sel:DWORD
	v_mul_f16_e32 v3, 0xb8b4, v102
	v_add_f16_sdwa v49, v59, v49 dst_sel:DWORD dst_unused:UNUSED_PAD src0_sel:WORD_1 src1_sel:DWORD
	v_pack_b32_f16 v5, v5, v52
	v_mul_f16_e32 v52, 0x34f2, v56
	v_mul_f16_e32 v55, 0x34f2, v55
	v_pack_b32_f16 v0, v0, v7
	v_pk_mul_f16 v56, v106, s14
	v_sub_f16_e32 v59, v121, v122
	v_fma_f16 v3, v107, s1, v3
	v_pk_add_f16 v0, v55, v0 op_sel_hi:[0,1]
	v_pk_fma_f16 v56, v105, s11, v56 op_sel:[0,0,1] op_sel_hi:[1,1,0] neg_lo:[0,0,1] neg_hi:[0,0,1]
	v_pack_b32_f16 v1, v59, v1
	v_pk_add_f16 v124, v121, v122
	v_mul_f16_e32 v50, 0xb8b4, v111
	v_mul_f16_e32 v57, 0x3a79, v120
	v_pk_add_f16 v5, v52, v5 op_sel_hi:[0,1]
	v_pk_mul_f16 v52, v110, s14
	v_add_f16_e32 v7, v11, v3
	v_pk_add_f16 v59, v0, v56
	ds_write_b32 v96, v1 offset:16
	v_sub_f16_e32 v1, v0, v56
	v_bfi_b32 v0, s0, v11, v0
	v_bfi_b32 v3, s0, v3, v56
	v_alignbit_b32 v124, v124, v124, 16
	v_add_f16_sdwa v49, v58, v49 dst_sel:DWORD dst_unused:UNUSED_PAD src0_sel:WORD_1 src1_sel:DWORD
	v_fma_f16 v50, v113, s1, v50
	v_fma_f16 v57, v118, s10, -v57
	v_pk_fma_f16 v52, v109, s11, v52 op_sel:[0,0,1] op_sel_hi:[1,1,0] neg_lo:[0,0,1] neg_hi:[0,0,1]
	v_pk_add_f16 v0, v0, v3 neg_lo:[0,1] neg_hi:[0,1]
	v_pack_b32_f16 v2, v12, v2
	ds_write2_b32 v96, v123, v124 offset1:1
	v_add_f16_e32 v58, v49, v54
	v_sub_f16_e32 v49, v54, v49
	v_add_f16_e32 v54, v51, v57
	v_sub_f16_e32 v51, v51, v57
	v_add_f16_e32 v55, v53, v50
	v_pk_add_f16 v57, v5, v52
	ds_write2_b32 v100, v2, v0 offset0:2 offset1:3
	v_pack_b32_f16 v0, v1, v4
	v_alignbit_b32 v59, v59, v59, 16
	v_pack_b32_f16 v6, v6, v7
	ds_write_b32 v100, v0 offset:16
	v_alignbit_b32 v0, v57, v57, 16
	v_pack_b32_f16 v1, v58, v55
	ds_write2_b32 v100, v6, v59 offset1:1
	ds_write2_b32 v103, v1, v0 offset1:1
	v_bfi_b32 v0, s0, v53, v5
	v_bfi_b32 v1, s0, v50, v52
	v_sub_f16_e32 v60, v5, v52
	v_pk_add_f16 v0, v0, v1 neg_lo:[0,1] neg_hi:[0,1]
	v_pack_b32_f16 v1, v54, v49
	ds_write2_b32 v103, v1, v0 offset0:2 offset1:3
	v_pack_b32_f16 v0, v60, v51
	v_lshlrev_b32_e32 v11, 2, v14
	v_mov_b32_e32 v12, 0
	ds_write_b32 v103, v0 offset:16
	v_lshlrev_b64 v[0:1], 2, v[11:12]
	v_mov_b32_e32 v2, s9
	v_add_co_u32_e64 v0, s[0:1], s8, v0
	v_addc_co_u32_e64 v1, s[0:1], v2, v1, s[0:1]
	s_waitcnt lgkmcnt(0)
	; wave barrier
	s_waitcnt lgkmcnt(0)
	global_load_dwordx4 v[4:7], v[0:1], off
	v_lshlrev_b32_e32 v11, 2, v26
	v_lshlrev_b64 v[0:1], 2, v[11:12]
	v_add_co_u32_e64 v0, s[0:1], s8, v0
	v_addc_co_u32_e64 v1, s[0:1], v2, v1, s[0:1]
	global_load_dwordx4 v[0:3], v[0:1], off
	ds_read_u16 v11, v38
	ds_read_u16 v53, v36 offset:100
	ds_read_u16 v51, v36 offset:110
	;; [unrolled: 1-line block ×13, first 2 shown]
	ds_read_u16 v100, v37
	s_movk_i32 s0, 0xcd
	s_waitcnt vmcnt(1) lgkmcnt(14)
	v_mul_f16_sdwa v59, v11, v4 dst_sel:DWORD dst_unused:UNUSED_PAD src0_sel:DWORD src1_sel:WORD_1
	v_fma_f16 v101, v98, v4, -v59
	v_mul_f16_sdwa v59, v98, v4 dst_sel:DWORD dst_unused:UNUSED_PAD src0_sel:DWORD src1_sel:WORD_1
	v_fma_f16 v98, v11, v4, v59
	s_waitcnt lgkmcnt(11)
	v_mul_f16_sdwa v11, v49, v5 dst_sel:DWORD dst_unused:UNUSED_PAD src0_sel:DWORD src1_sel:WORD_1
	v_fma_f16 v102, v97, v5, -v11
	v_mul_lo_u16_sdwa v11, v29, s0 dst_sel:DWORD dst_unused:UNUSED_PAD src0_sel:BYTE_0 src1_sel:DWORD
	v_lshrrev_b16_e32 v11, 11, v11
	v_mul_lo_u16_e32 v11, 10, v11
	v_sub_u16_e32 v11, v29, v11
	v_and_b32_e32 v11, 0xff, v11
	v_mul_f16_sdwa v59, v97, v5 dst_sel:DWORD dst_unused:UNUSED_PAD src0_sel:DWORD src1_sel:WORD_1
	v_lshlrev_b32_e32 v60, 4, v11
	global_load_dwordx4 v[60:63], v60, s[8:9]
	v_fma_f16 v97, v49, v5, v59
	s_waitcnt lgkmcnt(2)
	v_mul_f16_sdwa v49, v50, v6 dst_sel:DWORD dst_unused:UNUSED_PAD src0_sel:DWORD src1_sel:WORD_1
	v_fma_f16 v103, v99, v6, -v49
	v_mul_f16_sdwa v49, v99, v6 dst_sel:DWORD dst_unused:UNUSED_PAD src0_sel:DWORD src1_sel:WORD_1
	v_fma_f16 v99, v50, v6, v49
	v_mul_lo_u16_sdwa v49, v30, s0 dst_sel:DWORD dst_unused:UNUSED_PAD src0_sel:BYTE_0 src1_sel:DWORD
	v_lshrrev_b16_e32 v49, 11, v49
	v_mul_lo_u16_e32 v49, 10, v49
	v_sub_u16_e32 v49, v30, v49
	v_and_b32_e32 v49, 0xff, v49
	v_lshlrev_b32_e32 v50, 4, v49
	global_load_dwordx4 v[64:67], v50, s[8:9]
	ds_read_u16 v50, v36 offset:240
	ds_read_u16 v104, v36 offset:250
	;; [unrolled: 1-line block ×6, first 2 shown]
	ds_read_u16 v109, v41
	ds_read_u16 v110, v39
	s_waitcnt lgkmcnt(7)
	v_mul_f16_sdwa v59, v50, v7 dst_sel:DWORD dst_unused:UNUSED_PAD src0_sel:DWORD src1_sel:WORD_1
	v_fma_f16 v111, v95, v7, -v59
	v_mul_f16_sdwa v59, v95, v7 dst_sel:DWORD dst_unused:UNUSED_PAD src0_sel:DWORD src1_sel:WORD_1
	v_fma_f16 v95, v50, v7, v59
	ds_read_u16 v112, v42
	ds_read_u16 v113, v43
	;; [unrolled: 1-line block ×6, first 2 shown]
	s_waitcnt lgkmcnt(5)
	v_mul_f16_sdwa v116, v112, v4 dst_sel:DWORD dst_unused:UNUSED_PAD src0_sel:DWORD src1_sel:WORD_1
	v_fma_f16 v116, v94, v4, -v116
	v_mul_f16_sdwa v94, v94, v4 dst_sel:DWORD dst_unused:UNUSED_PAD src0_sel:DWORD src1_sel:WORD_1
	v_fma_f16 v94, v112, v4, v94
	v_mul_f16_sdwa v4, v68, v5 dst_sel:DWORD dst_unused:UNUSED_PAD src0_sel:DWORD src1_sel:WORD_1
	v_fma_f16 v4, v91, v5, -v4
	v_mul_f16_sdwa v91, v91, v5 dst_sel:DWORD dst_unused:UNUSED_PAD src0_sel:DWORD src1_sel:WORD_1
	v_fma_f16 v91, v68, v5, v91
	;; [unrolled: 4-line block ×4, first 2 shown]
	s_waitcnt vmcnt(2)
	v_mul_f16_sdwa v5, v109, v0 dst_sel:DWORD dst_unused:UNUSED_PAD src0_sel:DWORD src1_sel:WORD_1
	v_fma_f16 v68, v92, v0, -v5
	v_mul_f16_sdwa v5, v92, v0 dst_sel:DWORD dst_unused:UNUSED_PAD src0_sel:DWORD src1_sel:WORD_1
	v_fma_f16 v74, v109, v0, v5
	v_mul_f16_sdwa v5, v58, v1 dst_sel:DWORD dst_unused:UNUSED_PAD src0_sel:DWORD src1_sel:WORD_1
	v_fma_f16 v92, v88, v1, -v5
	v_mul_f16_sdwa v5, v88, v1 dst_sel:DWORD dst_unused:UNUSED_PAD src0_sel:DWORD src1_sel:WORD_1
	v_fma_f16 v58, v58, v1, v5
	;; [unrolled: 4-line block ×4, first 2 shown]
	s_waitcnt lgkmcnt(3)
	v_mul_f16_sdwa v5, v114, v0 dst_sel:DWORD dst_unused:UNUSED_PAD src0_sel:DWORD src1_sel:WORD_1
	v_fma_f16 v104, v87, v0, -v5
	v_mul_f16_sdwa v5, v87, v0 dst_sel:DWORD dst_unused:UNUSED_PAD src0_sel:DWORD src1_sel:WORD_1
	v_fma_f16 v87, v114, v0, v5
	v_mul_f16_sdwa v0, v56, v1 dst_sel:DWORD dst_unused:UNUSED_PAD src0_sel:DWORD src1_sel:WORD_1
	v_fma_f16 v105, v84, v1, -v0
	v_mul_f16_sdwa v0, v84, v1 dst_sel:DWORD dst_unused:UNUSED_PAD src0_sel:DWORD src1_sel:WORD_1
	v_fma_f16 v56, v56, v1, v0
	;; [unrolled: 4-line block ×4, first 2 shown]
	ds_read_u16 v0, v36 offset:160
	v_sub_f16_e32 v3, v98, v95
	v_sub_f16_e32 v5, v97, v99
	s_waitcnt lgkmcnt(0)
	; wave barrier
	s_waitcnt lgkmcnt(0)
	v_lshl_add_u32 v11, v11, 1, v46
	s_waitcnt vmcnt(1)
	v_mul_f16_sdwa v1, v53, v60 dst_sel:DWORD dst_unused:UNUSED_PAD src0_sel:DWORD src1_sel:WORD_1
	v_fma_f16 v106, v78, v60, -v1
	v_mul_f16_sdwa v1, v78, v60 dst_sel:DWORD dst_unused:UNUSED_PAD src0_sel:DWORD src1_sel:WORD_1
	v_fma_f16 v53, v53, v60, v1
	v_mul_f16_sdwa v1, v0, v61 dst_sel:DWORD dst_unused:UNUSED_PAD src0_sel:DWORD src1_sel:WORD_1
	v_fma_f16 v60, v80, v61, -v1
	v_mul_f16_sdwa v1, v80, v61 dst_sel:DWORD dst_unused:UNUSED_PAD src0_sel:DWORD src1_sel:WORD_1
	v_fma_f16 v61, v0, v61, v1
	;; [unrolled: 4-line block ×4, first 2 shown]
	s_waitcnt vmcnt(0)
	v_mul_f16_sdwa v0, v51, v64 dst_sel:DWORD dst_unused:UNUSED_PAD src0_sel:DWORD src1_sel:WORD_1
	v_fma_f16 v77, v75, v64, -v0
	v_mul_f16_sdwa v0, v75, v64 dst_sel:DWORD dst_unused:UNUSED_PAD src0_sel:DWORD src1_sel:WORD_1
	v_fma_f16 v51, v51, v64, v0
	v_mul_f16_sdwa v0, v54, v65 dst_sel:DWORD dst_unused:UNUSED_PAD src0_sel:DWORD src1_sel:WORD_1
	v_fma_f16 v64, v81, v65, -v0
	v_mul_f16_sdwa v0, v81, v65 dst_sel:DWORD dst_unused:UNUSED_PAD src0_sel:DWORD src1_sel:WORD_1
	v_fma_f16 v54, v54, v65, v0
	;; [unrolled: 4-line block ×4, first 2 shown]
	v_sub_f16_e32 v0, v101, v102
	v_sub_f16_e32 v1, v111, v103
	v_add_f16_e32 v1, v0, v1
	v_add_f16_e32 v0, v102, v103
	v_fma_f16 v2, v0, -0.5, v73
	v_fma_f16 v0, v3, s4, v2
	v_fma_f16 v2, v3, s7, v2
	;; [unrolled: 1-line block ×6, first 2 shown]
	v_sub_f16_e32 v1, v102, v101
	v_sub_f16_e32 v2, v103, v111
	v_add_f16_e32 v1, v1, v2
	v_add_f16_e32 v2, v101, v111
	v_fma_f16 v2, v2, -0.5, v73
	v_fma_f16 v6, v5, s7, v2
	v_fma_f16 v2, v5, s4, v2
	;; [unrolled: 1-line block ×6, first 2 shown]
	v_add_f16_e32 v1, v73, v101
	v_add_f16_e32 v1, v1, v102
	;; [unrolled: 1-line block ×4, first 2 shown]
	v_sub_f16_e32 v1, v98, v97
	v_sub_f16_e32 v2, v95, v99
	v_add_f16_e32 v2, v1, v2
	v_add_f16_e32 v1, v97, v99
	v_sub_f16_e32 v5, v101, v111
	v_fma_f16 v3, v1, -0.5, v100
	v_sub_f16_e32 v6, v102, v103
	v_fma_f16 v1, v5, s7, v3
	v_fma_f16 v3, v5, s4, v3
	;; [unrolled: 1-line block ×6, first 2 shown]
	v_add_f16_e32 v3, v98, v95
	v_fma_f16 v73, v3, -0.5, v100
	v_sub_f16_e32 v75, v97, v98
	v_sub_f16_e32 v81, v99, v95
	v_add_f16_e32 v75, v75, v81
	v_fma_f16 v81, v6, s4, v73
	v_fma_f16 v6, v6, s7, v73
	;; [unrolled: 1-line block ×4, first 2 shown]
	v_add_f16_e32 v3, v100, v98
	v_fma_f16 v5, v75, s6, v73
	v_fma_f16 v6, v75, s6, v6
	v_sub_f16_e32 v73, v68, v92
	v_sub_f16_e32 v75, v96, v88
	v_add_f16_e32 v3, v3, v97
	v_add_f16_e32 v73, v73, v75
	;; [unrolled: 1-line block ×4, first 2 shown]
	v_fma_f16 v75, v75, -0.5, v72
	v_sub_f16_e32 v81, v74, v85
	v_add_f16_e32 v3, v3, v95
	v_fma_f16 v82, v81, s4, v75
	v_sub_f16_e32 v95, v58, v90
	v_fma_f16 v75, v81, s7, v75
	v_fma_f16 v82, v95, s5, v82
	;; [unrolled: 1-line block ×5, first 2 shown]
	v_sub_f16_e32 v73, v92, v68
	v_sub_f16_e32 v75, v88, v96
	v_add_f16_e32 v73, v73, v75
	v_add_f16_e32 v75, v68, v96
	v_fma_f16 v75, v75, -0.5, v72
	v_add_f16_e32 v72, v72, v68
	v_fma_f16 v98, v95, s7, v75
	v_fma_f16 v75, v95, s4, v75
	v_add_f16_e32 v72, v72, v92
	v_fma_f16 v95, v81, s5, v98
	v_fma_f16 v75, v81, s10, v75
	;; [unrolled: 3-line block ×3, first 2 shown]
	v_add_f16_e32 v98, v72, v96
	v_sub_f16_e32 v75, v68, v96
	v_sub_f16_e32 v68, v74, v58
	;; [unrolled: 1-line block ×3, first 2 shown]
	v_add_f16_e32 v72, v68, v72
	v_add_f16_e32 v68, v58, v90
	v_fma_f16 v73, v68, -0.5, v110
	v_sub_f16_e32 v88, v92, v88
	v_fma_f16 v68, v75, s7, v73
	v_fma_f16 v73, v75, s4, v73
	;; [unrolled: 1-line block ×6, first 2 shown]
	v_add_f16_e32 v73, v74, v85
	v_fma_f16 v92, v73, -0.5, v110
	v_add_f16_e32 v73, v110, v74
	v_add_f16_e32 v73, v73, v58
	v_sub_f16_e32 v58, v58, v74
	v_add_f16_e32 v73, v73, v90
	v_sub_f16_e32 v74, v90, v85
	v_add_f16_e32 v73, v73, v85
	v_add_f16_e32 v58, v58, v74
	v_fma_f16 v74, v88, s4, v92
	v_fma_f16 v85, v88, s7, v92
	;; [unrolled: 1-line block ×6, first 2 shown]
	v_sub_f16_e32 v58, v116, v4
	v_sub_f16_e32 v85, v117, v112
	v_add_f16_e32 v58, v58, v85
	v_add_f16_e32 v85, v4, v112
	v_fma_f16 v85, v85, -0.5, v71
	v_sub_f16_e32 v88, v94, v89
	v_fma_f16 v90, v88, s4, v85
	v_sub_f16_e32 v92, v91, v93
	v_fma_f16 v85, v88, s7, v85
	v_fma_f16 v90, v92, s5, v90
	;; [unrolled: 1-line block ×5, first 2 shown]
	v_sub_f16_e32 v85, v4, v116
	v_sub_f16_e32 v96, v112, v117
	v_add_f16_e32 v85, v85, v96
	v_add_f16_e32 v96, v116, v117
	v_fma_f16 v96, v96, -0.5, v71
	v_fma_f16 v99, v92, s7, v96
	v_fma_f16 v92, v92, s4, v96
	;; [unrolled: 1-line block ×3, first 2 shown]
	v_add_f16_e32 v71, v71, v116
	v_fma_f16 v88, v88, s10, v92
	v_fma_f16 v92, v85, s6, v96
	v_add_f16_e32 v71, v71, v4
	v_sub_f16_e32 v96, v4, v112
	v_sub_f16_e32 v4, v94, v91
	;; [unrolled: 1-line block ×3, first 2 shown]
	v_add_f16_e32 v4, v4, v99
	v_add_f16_e32 v99, v91, v93
	v_fma_f16 v85, v85, s6, v88
	v_sub_f16_e32 v88, v116, v117
	v_fma_f16 v99, v99, -0.5, v115
	v_fma_f16 v100, v88, s7, v99
	v_fma_f16 v99, v88, s4, v99
	v_add_f16_e32 v101, v115, v94
	v_fma_f16 v100, v96, s10, v100
	v_fma_f16 v99, v96, s5, v99
	v_add_f16_e32 v101, v101, v91
	;; [unrolled: 3-line block ×3, first 2 shown]
	v_sub_f16_e32 v91, v91, v94
	v_add_f16_e32 v94, v101, v93
	v_fma_f16 v99, v99, -0.5, v115
	v_add_f16_e32 v94, v94, v89
	v_sub_f16_e32 v89, v93, v89
	v_add_f16_e32 v89, v91, v89
	v_fma_f16 v91, v96, s4, v99
	v_fma_f16 v93, v96, s7, v99
	;; [unrolled: 1-line block ×6, first 2 shown]
	v_sub_f16_e32 v89, v104, v105
	v_sub_f16_e32 v93, v86, v84
	v_add_f16_e32 v89, v89, v93
	v_add_f16_e32 v93, v105, v84
	v_fma_f16 v93, v93, -0.5, v70
	v_sub_f16_e32 v96, v87, v83
	v_fma_f16 v99, v96, s4, v93
	v_sub_f16_e32 v101, v56, v57
	v_fma_f16 v93, v96, s7, v93
	v_fma_f16 v99, v101, s5, v99
	;; [unrolled: 1-line block ×5, first 2 shown]
	v_sub_f16_e32 v93, v105, v104
	v_sub_f16_e32 v102, v84, v86
	v_add_f16_e32 v93, v93, v102
	v_add_f16_e32 v102, v104, v86
	v_fma_f16 v102, v102, -0.5, v70
	v_fma_f16 v103, v101, s7, v102
	v_fma_f16 v101, v101, s4, v102
	;; [unrolled: 1-line block ×4, first 2 shown]
	v_add_f16_e32 v70, v70, v104
	v_fma_f16 v101, v93, s6, v102
	v_fma_f16 v93, v93, s6, v96
	v_add_f16_e32 v70, v70, v105
	v_sub_f16_e32 v96, v87, v56
	v_sub_f16_e32 v102, v83, v57
	v_add_f16_e32 v70, v70, v84
	v_add_f16_e32 v96, v96, v102
	;; [unrolled: 1-line block ×4, first 2 shown]
	v_sub_f16_e32 v86, v104, v86
	v_fma_f16 v102, v102, -0.5, v113
	v_sub_f16_e32 v84, v105, v84
	v_fma_f16 v103, v86, s7, v102
	v_fma_f16 v102, v86, s4, v102
	;; [unrolled: 1-line block ×4, first 2 shown]
	v_add_f16_e32 v104, v113, v87
	v_fma_f16 v103, v96, s6, v103
	v_fma_f16 v96, v96, s6, v102
	v_add_f16_e32 v102, v87, v83
	v_add_f16_e32 v104, v104, v56
	v_fma_f16 v102, v102, -0.5, v113
	v_sub_f16_e32 v56, v56, v87
	v_add_f16_e32 v87, v104, v57
	v_sub_f16_e32 v57, v57, v83
	v_add_f16_e32 v87, v87, v83
	v_add_f16_e32 v56, v56, v57
	v_fma_f16 v57, v84, s4, v102
	v_fma_f16 v83, v84, s7, v102
	;; [unrolled: 1-line block ×6, first 2 shown]
	v_sub_f16_e32 v56, v106, v60
	v_sub_f16_e32 v57, v62, v78
	v_add_f16_e32 v56, v56, v57
	v_add_f16_e32 v57, v60, v78
	v_fma_f16 v57, v57, -0.5, v69
	v_sub_f16_e32 v86, v53, v63
	v_fma_f16 v102, v86, s4, v57
	v_sub_f16_e32 v104, v61, v55
	v_fma_f16 v57, v86, s7, v57
	v_fma_f16 v102, v104, s5, v102
	v_fma_f16 v57, v104, s10, v57
	v_fma_f16 v102, v56, s6, v102
	v_fma_f16 v56, v56, s6, v57
	v_sub_f16_e32 v57, v60, v106
	v_sub_f16_e32 v105, v78, v62
	v_add_f16_e32 v57, v57, v105
	v_add_f16_e32 v105, v106, v62
	v_fma_f16 v105, v105, -0.5, v69
	v_fma_f16 v107, v104, s7, v105
	v_fma_f16 v104, v104, s4, v105
	v_add_f16_e32 v69, v69, v106
	v_fma_f16 v105, v86, s5, v107
	v_fma_f16 v86, v86, s10, v104
	v_add_f16_e32 v69, v69, v60
	;; [unrolled: 3-line block ×3, first 2 shown]
	v_sub_f16_e32 v60, v60, v78
	v_sub_f16_e32 v78, v53, v61
	;; [unrolled: 1-line block ×3, first 2 shown]
	v_add_f16_e32 v78, v78, v86
	v_add_f16_e32 v86, v61, v55
	;; [unrolled: 1-line block ×3, first 2 shown]
	v_sub_f16_e32 v62, v106, v62
	v_fma_f16 v86, v86, -0.5, v59
	v_fma_f16 v105, v62, s7, v86
	v_fma_f16 v86, v62, s4, v86
	;; [unrolled: 1-line block ×6, first 2 shown]
	v_add_f16_e32 v78, v53, v63
	v_fma_f16 v78, v78, -0.5, v59
	v_add_f16_e32 v59, v59, v53
	v_add_f16_e32 v59, v59, v61
	v_sub_f16_e32 v53, v61, v53
	v_add_f16_e32 v59, v59, v55
	v_sub_f16_e32 v55, v55, v63
	v_add_f16_e32 v106, v59, v63
	v_add_f16_e32 v53, v53, v55
	v_fma_f16 v55, v60, s4, v78
	v_fma_f16 v59, v60, s7, v78
	;; [unrolled: 1-line block ×6, first 2 shown]
	v_sub_f16_e32 v53, v77, v64
	v_sub_f16_e32 v55, v66, v65
	v_add_f16_e32 v53, v53, v55
	v_add_f16_e32 v55, v64, v65
	v_fma_f16 v55, v55, -0.5, v48
	v_sub_f16_e32 v59, v51, v67
	v_fma_f16 v60, v59, s4, v55
	v_sub_f16_e32 v61, v54, v52
	v_fma_f16 v55, v59, s7, v55
	v_fma_f16 v60, v61, s5, v60
	;; [unrolled: 1-line block ×5, first 2 shown]
	v_sub_f16_e32 v55, v64, v77
	v_sub_f16_e32 v62, v65, v66
	v_add_f16_e32 v55, v55, v62
	v_add_f16_e32 v62, v77, v66
	v_fma_f16 v62, v62, -0.5, v48
	v_fma_f16 v63, v61, s7, v62
	v_fma_f16 v61, v61, s4, v62
	;; [unrolled: 1-line block ×3, first 2 shown]
	v_add_f16_e32 v48, v48, v77
	v_fma_f16 v59, v59, s10, v61
	v_fma_f16 v61, v55, s6, v62
	v_add_f16_e32 v48, v48, v64
	v_sub_f16_e32 v62, v64, v65
	v_sub_f16_e32 v63, v51, v54
	;; [unrolled: 1-line block ×3, first 2 shown]
	v_add_f16_e32 v63, v63, v64
	v_add_f16_e32 v64, v54, v52
	v_fma_f16 v55, v55, s6, v59
	v_sub_f16_e32 v59, v77, v66
	v_fma_f16 v64, v64, -0.5, v50
	v_add_f16_e32 v48, v48, v65
	v_fma_f16 v65, v59, s7, v64
	v_fma_f16 v64, v59, s4, v64
	;; [unrolled: 1-line block ×6, first 2 shown]
	v_add_f16_e32 v63, v51, v67
	v_fma_f16 v63, v63, -0.5, v50
	v_add_f16_e32 v50, v50, v51
	v_add_f16_e32 v50, v50, v54
	;; [unrolled: 1-line block ×3, first 2 shown]
	v_sub_f16_e32 v51, v54, v51
	v_add_f16_e32 v111, v50, v67
	v_sub_f16_e32 v50, v52, v67
	v_add_f16_e32 v71, v71, v112
	v_add_f16_e32 v50, v51, v50
	v_fma_f16 v51, v62, s4, v63
	v_fma_f16 v52, v62, s7, v63
	v_add_f16_e32 v71, v71, v117
	v_add_f16_e32 v48, v48, v66
	v_fma_f16 v51, v59, s10, v51
	v_fma_f16 v52, v59, s5, v52
	ds_write_b16 v36, v80
	ds_write_b16 v36, v0 offset:20
	ds_write_b16 v36, v76 offset:40
	;; [unrolled: 1-line block ×4, first 2 shown]
	ds_write_b16 v39, v98
	ds_write_b16 v39, v82 offset:20
	ds_write_b16 v39, v81 offset:40
	;; [unrolled: 1-line block ×7, first 2 shown]
	v_lshl_add_u32 v79, v32, 1, v46
	v_lshl_add_u32 v80, v49, 1, v46
	v_fma_f16 v112, v50, s6, v51
	v_fma_f16 v113, v50, s6, v52
	ds_write_b16 v79, v85
	ds_write_b16 v36, v58 offset:180
	ds_write_b16 v39, v70 offset:100
	;; [unrolled: 1-line block ×16, first 2 shown]
	s_waitcnt lgkmcnt(0)
	; wave barrier
	s_waitcnt lgkmcnt(0)
	ds_read_u16 v0, v37
	ds_read_u16 v49, v36 offset:120
	ds_read_u16 v53, v36 offset:130
	;; [unrolled: 1-line block ×4, first 2 shown]
	ds_read_u16 v46, v40
	ds_read_u16 v51, v36 offset:220
	ds_read_u16 v54, v36 offset:230
	;; [unrolled: 1-line block ×4, first 2 shown]
	ds_read_u16 v61, v38
	ds_read_u16 v58, v47
	;; [unrolled: 1-line block ×6, first 2 shown]
	ds_read_u16 v63, v36 offset:160
	ds_read_u16 v66, v36 offset:170
	;; [unrolled: 1-line block ×11, first 2 shown]
	ds_read_u16 v65, v41
	ds_read_u16 v50, v39
	ds_read_u16 v78, v36 offset:290
	s_waitcnt lgkmcnt(0)
	; wave barrier
	s_waitcnt lgkmcnt(0)
	ds_write_b16 v36, v3
	ds_write_b16 v36, v1 offset:20
	ds_write_b16 v36, v5 offset:40
	;; [unrolled: 1-line block ×4, first 2 shown]
	ds_write_b16 v39, v73
	ds_write_b16 v39, v68 offset:20
	ds_write_b16 v39, v74 offset:40
	;; [unrolled: 1-line block ×7, first 2 shown]
	ds_write_b16 v79, v88
	ds_write_b16 v36, v4 offset:180
	ds_write_b16 v39, v87 offset:100
	ds_write_b16 v39, v103 offset:120
	ds_write_b16 v39, v84 offset:140
	ds_write_b16 v39, v83 offset:160
	ds_write_b16 v39, v96 offset:180
	ds_write_b16 v11, v106 offset:200
	ds_write_b16 v11, v105 offset:220
	ds_write_b16 v11, v107 offset:240
	ds_write_b16 v11, v108 offset:260
	ds_write_b16 v11, v86 offset:280
	ds_write_b16 v80, v111 offset:200
	ds_write_b16 v80, v109 offset:220
	ds_write_b16 v80, v112 offset:240
	ds_write_b16 v80, v113 offset:260
	ds_write_b16 v80, v110 offset:280
	s_waitcnt lgkmcnt(0)
	; wave barrier
	s_waitcnt lgkmcnt(0)
	s_and_saveexec_b64 s[0:1], vcc
	s_cbranch_execz .LBB0_14
; %bb.13:
	v_lshlrev_b32_e32 v11, 1, v35
	v_lshlrev_b64 v[1:2], 2, v[11:12]
	v_lshlrev_b32_e32 v11, 1, v34
	v_mov_b32_e32 v79, s9
	v_add_co_u32_e32 v1, vcc, s8, v1
	v_lshlrev_b64 v[3:4], 2, v[11:12]
	v_addc_co_u32_e32 v2, vcc, v79, v2, vcc
	v_add_co_u32_e32 v3, vcc, s8, v3
	global_load_dwordx2 v[1:2], v[1:2], off offset:160
	v_addc_co_u32_e32 v4, vcc, v79, v4, vcc
	global_load_dwordx2 v[3:4], v[3:4], off offset:160
	v_lshlrev_b32_e32 v11, 1, v33
	v_lshlrev_b64 v[5:6], 2, v[11:12]
	v_lshlrev_b32_e32 v11, 1, v31
	v_add_co_u32_e32 v5, vcc, s8, v5
	v_addc_co_u32_e32 v6, vcc, v79, v6, vcc
	global_load_dwordx2 v[72:73], v[5:6], off offset:160
	v_lshlrev_b64 v[5:6], 2, v[11:12]
	ds_read_u16 v80, v36 offset:230
	ds_read_u16 v81, v36 offset:220
	;; [unrolled: 1-line block ×7, first 2 shown]
	ds_read_u16 v84, v41
	ds_read_u16 v85, v39
	ds_read_u16 v35, v36 offset:290
	ds_read_u16 v39, v36 offset:280
	;; [unrolled: 1-line block ×3, first 2 shown]
	ds_read_u16 v47, v47
	ds_read_u16 v86, v45
	;; [unrolled: 1-line block ×6, first 2 shown]
	v_add_co_u32_e32 v5, vcc, s8, v5
	v_addc_co_u32_e32 v6, vcc, v79, v6, vcc
	global_load_dwordx2 v[74:75], v[5:6], off offset:160
	s_movk_i32 s0, 0x3aee
	s_mov_b32 s1, 0xbaee
	s_waitcnt vmcnt(3) lgkmcnt(13)
	v_mul_f16_sdwa v5, v33, v1 dst_sel:DWORD dst_unused:UNUSED_PAD src0_sel:DWORD src1_sel:WORD_1
	v_mul_f16_sdwa v11, v77, v1 dst_sel:DWORD dst_unused:UNUSED_PAD src0_sel:DWORD src1_sel:WORD_1
	s_waitcnt lgkmcnt(8)
	v_mul_f16_sdwa v6, v35, v2 dst_sel:DWORD dst_unused:UNUSED_PAD src0_sel:DWORD src1_sel:WORD_1
	v_mul_f16_sdwa v31, v78, v2 dst_sel:DWORD dst_unused:UNUSED_PAD src0_sel:DWORD src1_sel:WORD_1
	v_fma_f16 v5, v77, v1, -v5
	v_fma_f16 v1, v1, v33, v11
	s_waitcnt vmcnt(2)
	v_mul_f16_sdwa v11, v34, v3 dst_sel:DWORD dst_unused:UNUSED_PAD src0_sel:DWORD src1_sel:WORD_1
	v_mul_f16_sdwa v33, v71, v3 dst_sel:DWORD dst_unused:UNUSED_PAD src0_sel:DWORD src1_sel:WORD_1
	v_fma_f16 v6, v78, v2, -v6
	v_fma_f16 v2, v2, v35, v31
	s_waitcnt lgkmcnt(7)
	v_mul_f16_sdwa v31, v39, v4 dst_sel:DWORD dst_unused:UNUSED_PAD src0_sel:DWORD src1_sel:WORD_1
	v_mul_f16_sdwa v35, v76, v4 dst_sel:DWORD dst_unused:UNUSED_PAD src0_sel:DWORD src1_sel:WORD_1
	v_fma_f16 v89, v71, v3, -v11
	v_fma_f16 v3, v3, v34, v33
	v_add_f16_e32 v43, v1, v2
	v_fma_f16 v76, v76, v4, -v31
	v_fma_f16 v11, v4, v39, v35
	s_waitcnt lgkmcnt(1)
	v_add_f16_e32 v35, v3, v42
	v_sub_f16_e32 v40, v5, v6
	v_add_f16_e32 v45, v1, v44
	v_sub_f16_e32 v78, v1, v2
	v_add_f16_e32 v1, v70, v5
	v_fma_f16 v4, v43, -0.5, v44
	v_add_f16_e32 v34, v3, v11
	v_add_f16_e32 v39, v89, v76
	v_sub_f16_e32 v43, v3, v11
	v_add_f16_e32 v35, v11, v35
	v_lshlrev_b32_e32 v11, 1, v30
	v_add_f16_e32 v77, v5, v6
	v_add_f16_e32 v6, v1, v6
	v_fma_f16 v1, v40, s0, v4
	v_fma_f16 v3, v40, s1, v4
	v_fma_f16 v34, v34, -0.5, v42
	v_fma_f16 v42, v39, -0.5, v69
	v_lshlrev_b64 v[39:40], 2, v[11:12]
	v_fma_f16 v31, v77, -0.5, v70
	v_add_co_u32_e32 v39, vcc, s8, v39
	v_addc_co_u32_e32 v40, vcc, v79, v40, vcc
	v_sub_f16_e32 v33, v89, v76
	global_load_dwordx2 v[70:71], v[39:40], off offset:160
	v_add_f16_e32 v11, v69, v89
	s_waitcnt vmcnt(2)
	v_mul_f16_sdwa v40, v66, v72 dst_sel:DWORD dst_unused:UNUSED_PAD src0_sel:DWORD src1_sel:WORD_1
	v_add_f16_e32 v5, v2, v45
	v_fma_f16 v2, v78, s1, v31
	v_fma_f16 v4, v78, s0, v31
	;; [unrolled: 1-line block ×6, first 2 shown]
	v_add_f16_e32 v39, v11, v76
	v_mul_f16_sdwa v11, v68, v72 dst_sel:DWORD dst_unused:UNUSED_PAD src0_sel:DWORD src1_sel:WORD_1
	v_fma_f16 v42, v72, v68, v40
	v_mul_f16_sdwa v40, v67, v73 dst_sel:DWORD dst_unused:UNUSED_PAD src0_sel:DWORD src1_sel:WORD_1
	v_fma_f16 v76, v66, v72, -v11
	v_mul_f16_sdwa v11, v41, v73 dst_sel:DWORD dst_unused:UNUSED_PAD src0_sel:DWORD src1_sel:WORD_1
	v_fma_f16 v44, v73, v41, v40
	v_fma_f16 v78, v67, v73, -v11
	v_add_f16_e32 v40, v42, v44
	v_sub_f16_e32 v11, v76, v78
	v_fma_f16 v41, v40, -0.5, v84
	v_fma_f16 v40, v11, s0, v41
	v_fma_f16 v41, v11, s1, v41
	v_add_f16_e32 v11, v42, v84
	v_add_f16_e32 v43, v44, v11
	;; [unrolled: 1-line block ×3, first 2 shown]
	v_fma_f16 v68, v11, -0.5, v65
	v_lshlrev_b32_e32 v11, 1, v29
	v_sub_f16_e32 v42, v42, v44
	v_lshlrev_b64 v[44:45], 2, v[11:12]
	ds_read_u16 v69, v36 offset:160
	ds_read_u16 v77, v36 offset:260
	v_add_co_u32_e32 v44, vcc, s8, v44
	v_addc_co_u32_e32 v45, vcc, v79, v45, vcc
	global_load_dwordx2 v[66:67], v[44:45], off offset:160
	v_add_f16_e32 v11, v65, v76
	v_add_f16_e32 v44, v11, v78
	s_waitcnt vmcnt(2) lgkmcnt(1)
	v_mul_f16_sdwa v11, v69, v74 dst_sel:DWORD dst_unused:UNUSED_PAD src0_sel:DWORD src1_sel:WORD_1
	v_fma_f16 v29, v42, s1, v68
	v_fma_f16 v42, v42, s0, v68
	ds_read_u16 v65, v36 offset:110
	ds_read_u16 v72, v36 offset:120
	;; [unrolled: 1-line block ×5, first 2 shown]
	v_fma_f16 v68, v63, v74, -v11
	ds_read_u16 v84, v36 offset:250
	s_waitcnt lgkmcnt(6)
	v_mul_f16_sdwa v11, v77, v75 dst_sel:DWORD dst_unused:UNUSED_PAD src0_sel:DWORD src1_sel:WORD_1
	ds_read_u16 v90, v36 offset:100
	ds_read_u16 v91, v38
	v_fma_f16 v89, v64, v75, -v11
	v_mul_f16_sdwa v11, v63, v74 dst_sel:DWORD dst_unused:UNUSED_PAD src0_sel:DWORD src1_sel:WORD_1
	v_fma_f16 v69, v74, v69, v11
	v_mul_f16_sdwa v11, v64, v75 dst_sel:DWORD dst_unused:UNUSED_PAD src0_sel:DWORD src1_sel:WORD_1
	v_fma_f16 v74, v75, v77, v11
	v_add_f16_e32 v38, v69, v74
	v_lshlrev_b32_e32 v11, 1, v28
	v_sub_f16_e32 v45, v68, v89
	v_lshlrev_b64 v[63:64], 2, v[11:12]
	s_waitcnt lgkmcnt(0)
	v_fma_f16 v11, v38, -0.5, v91
	v_fma_f16 v28, v45, s0, v11
	v_fma_f16 v38, v45, s1, v11
	v_add_f16_e32 v11, v69, v91
	v_add_f16_e32 v77, v74, v11
	;; [unrolled: 1-line block ×3, first 2 shown]
	v_add_co_u32_e32 v63, vcc, s8, v63
	v_fma_f16 v11, v11, -0.5, v61
	v_sub_f16_e32 v45, v69, v74
	v_addc_co_u32_e32 v64, vcc, v79, v64, vcc
	ds_read_u16 v75, v37
	ds_read_u16 v36, v36 offset:240
	v_fma_f16 v37, v45, s1, v11
	v_fma_f16 v45, v45, s0, v11
	v_add_f16_e32 v11, v61, v68
	global_load_dwordx2 v[63:64], v[63:64], off offset:160
	v_add_f16_e32 v61, v11, v89
	v_lshlrev_b32_e32 v11, 1, v27
	v_lshlrev_b64 v[68:69], 2, v[11:12]
	v_pack_b32_f16 v3, v4, v3
	v_add_co_u32_e32 v68, vcc, s8, v68
	s_waitcnt vmcnt(2)
	v_mul_f16_sdwa v11, v78, v70 dst_sel:DWORD dst_unused:UNUSED_PAD src0_sel:DWORD src1_sel:WORD_1
	v_mul_f16_sdwa v27, v59, v70 dst_sel:DWORD dst_unused:UNUSED_PAD src0_sel:DWORD src1_sel:WORD_1
	v_fma_f16 v74, v59, v70, -v11
	v_mul_f16_sdwa v11, v84, v71 dst_sel:DWORD dst_unused:UNUSED_PAD src0_sel:DWORD src1_sel:WORD_1
	v_fma_f16 v59, v70, v78, v27
	v_mul_f16_sdwa v27, v62, v71 dst_sel:DWORD dst_unused:UNUSED_PAD src0_sel:DWORD src1_sel:WORD_1
	v_fma_f16 v89, v62, v71, -v11
	v_fma_f16 v62, v71, v84, v27
	v_add_f16_e32 v27, v59, v62
	v_addc_co_u32_e32 v69, vcc, v79, v69, vcc
	global_load_dwordx2 v[68:69], v[68:69], off offset:160
	v_sub_f16_e32 v11, v74, v89
	v_fma_f16 v27, v27, -0.5, v47
	v_fma_f16 v70, v11, s0, v27
	v_fma_f16 v71, v11, s1, v27
	v_add_f16_e32 v11, v59, v47
	v_add_f16_e32 v47, v62, v11
	;; [unrolled: 1-line block ×3, first 2 shown]
	v_lshlrev_b32_e32 v11, 1, v26
	v_lshlrev_b64 v[26:27], 2, v[11:12]
	v_fma_f16 v11, v78, -0.5, v58
	v_sub_f16_e32 v59, v59, v62
	v_fma_f16 v62, v59, s1, v11
	v_fma_f16 v59, v59, s0, v11
	v_add_f16_e32 v11, v58, v74
	v_add_co_u32_e32 v26, vcc, s8, v26
	v_add_f16_e32 v58, v11, v89
	v_addc_co_u32_e32 v27, vcc, v79, v27, vcc
	global_load_dwordx2 v[26:27], v[26:27], off offset:160
	s_waitcnt vmcnt(3)
	v_mul_f16_sdwa v11, v76, v66 dst_sel:DWORD dst_unused:UNUSED_PAD src0_sel:DWORD src1_sel:WORD_1
	v_fma_f16 v74, v56, v66, -v11
	s_waitcnt lgkmcnt(0)
	v_mul_f16_sdwa v11, v36, v67 dst_sel:DWORD dst_unused:UNUSED_PAD src0_sel:DWORD src1_sel:WORD_1
	v_fma_f16 v78, v60, v67, -v11
	v_mul_f16_sdwa v11, v56, v66 dst_sel:DWORD dst_unused:UNUSED_PAD src0_sel:DWORD src1_sel:WORD_1
	v_fma_f16 v56, v66, v76, v11
	v_mul_f16_sdwa v11, v60, v67 dst_sel:DWORD dst_unused:UNUSED_PAD src0_sel:DWORD src1_sel:WORD_1
	v_fma_f16 v36, v67, v36, v11
	v_mov_b32_e32 v11, v12
	v_lshlrev_b64 v[10:11], 2, v[10:11]
	v_add_f16_e32 v12, v56, v36
	v_add_co_u32_e32 v10, vcc, s8, v10
	v_addc_co_u32_e32 v11, vcc, v79, v11, vcc
	global_load_dwordx2 v[10:11], v[10:11], off offset:160
	v_sub_f16_e32 v84, v74, v78
	v_fma_f16 v12, v12, -0.5, v86
	v_fma_f16 v60, v84, s0, v12
	v_fma_f16 v66, v84, s1, v12
	v_add_f16_e32 v12, v56, v86
	v_add_f16_e32 v67, v36, v12
	;; [unrolled: 1-line block ×3, first 2 shown]
	v_fma_f16 v12, v12, -0.5, v57
	v_sub_f16_e32 v36, v56, v36
	v_fma_f16 v56, v36, s1, v12
	v_fma_f16 v36, v36, s0, v12
	v_add_f16_e32 v12, v57, v74
	v_add_f16_e32 v57, v12, v78
	s_waitcnt vmcnt(3)
	v_mul_f16_sdwa v12, v73, v63 dst_sel:DWORD dst_unused:UNUSED_PAD src0_sel:DWORD src1_sel:WORD_1
	v_mul_f16_sdwa v74, v80, v64 dst_sel:DWORD dst_unused:UNUSED_PAD src0_sel:DWORD src1_sel:WORD_1
	v_fma_f16 v12, v53, v63, -v12
	v_fma_f16 v74, v54, v64, -v74
	v_mul_f16_sdwa v53, v53, v63 dst_sel:DWORD dst_unused:UNUSED_PAD src0_sel:DWORD src1_sel:WORD_1
	v_mul_f16_sdwa v54, v54, v64 dst_sel:DWORD dst_unused:UNUSED_PAD src0_sel:DWORD src1_sel:WORD_1
	v_fma_f16 v53, v63, v73, v53
	v_fma_f16 v54, v64, v80, v54
	v_add_f16_e32 v63, v53, v54
	v_sub_f16_e32 v76, v12, v74
	v_fma_f16 v63, v63, -0.5, v87
	v_fma_f16 v64, v76, s0, v63
	v_fma_f16 v63, v76, s1, v63
	v_add_f16_e32 v76, v12, v74
	v_add_f16_e32 v12, v55, v12
	v_fma_f16 v76, v76, -0.5, v55
	v_add_f16_e32 v55, v12, v74
	v_add_f16_e32 v73, v53, v87
	s_waitcnt vmcnt(2)
	v_mul_f16_sdwa v12, v72, v68 dst_sel:DWORD dst_unused:UNUSED_PAD src0_sel:DWORD src1_sel:WORD_1
	v_mul_f16_sdwa v74, v81, v69 dst_sel:DWORD dst_unused:UNUSED_PAD src0_sel:DWORD src1_sel:WORD_1
	v_fma_f16 v12, v49, v68, -v12
	v_fma_f16 v74, v51, v69, -v74
	v_mul_f16_sdwa v49, v49, v68 dst_sel:DWORD dst_unused:UNUSED_PAD src0_sel:DWORD src1_sel:WORD_1
	v_mul_f16_sdwa v51, v51, v69 dst_sel:DWORD dst_unused:UNUSED_PAD src0_sel:DWORD src1_sel:WORD_1
	v_fma_f16 v49, v68, v72, v49
	v_fma_f16 v51, v69, v81, v51
	v_sub_f16_e32 v53, v53, v54
	v_add_f16_e32 v68, v49, v51
	v_add_f16_e32 v73, v54, v73
	v_fma_f16 v54, v53, s1, v76
	v_fma_f16 v53, v53, s0, v76
	v_sub_f16_e32 v76, v12, v74
	v_fma_f16 v68, v68, -0.5, v88
	v_fma_f16 v69, v76, s0, v68
	v_fma_f16 v68, v76, s1, v68
	v_add_f16_e32 v76, v12, v74
	v_add_f16_e32 v12, v46, v12
	v_fma_f16 v76, v76, -0.5, v46
	v_add_f16_e32 v46, v12, v74
	s_waitcnt vmcnt(1)
	v_mul_f16_sdwa v12, v65, v26 dst_sel:DWORD dst_unused:UNUSED_PAD src0_sel:DWORD src1_sel:WORD_1
	v_fma_f16 v12, v32, v26, -v12
	v_mul_f16_sdwa v32, v32, v26 dst_sel:DWORD dst_unused:UNUSED_PAD src0_sel:DWORD src1_sel:WORD_1
	v_mul_f16_sdwa v74, v82, v27 dst_sel:DWORD dst_unused:UNUSED_PAD src0_sel:DWORD src1_sel:WORD_1
	v_fma_f16 v26, v26, v65, v32
	v_mul_f16_sdwa v32, v52, v27 dst_sel:DWORD dst_unused:UNUSED_PAD src0_sel:DWORD src1_sel:WORD_1
	v_fma_f16 v74, v52, v27, -v74
	v_fma_f16 v27, v27, v82, v32
	v_add_f16_e32 v72, v49, v88
	v_sub_f16_e32 v49, v49, v51
	v_add_f16_e32 v32, v26, v27
	v_add_f16_e32 v72, v51, v72
	v_fma_f16 v51, v49, s1, v76
	v_fma_f16 v49, v49, s0, v76
	v_sub_f16_e32 v76, v12, v74
	v_fma_f16 v32, v32, -0.5, v85
	v_fma_f16 v52, v76, s0, v32
	v_fma_f16 v32, v76, s1, v32
	v_add_f16_e32 v76, v12, v74
	v_add_f16_e32 v12, v50, v12
	;; [unrolled: 1-line block ×3, first 2 shown]
	v_fma_f16 v76, v76, -0.5, v50
	v_sub_f16_e32 v26, v26, v27
	v_add_f16_e32 v50, v12, v74
	s_waitcnt vmcnt(0)
	v_mul_f16_sdwa v12, v90, v10 dst_sel:DWORD dst_unused:UNUSED_PAD src0_sel:DWORD src1_sel:WORD_1
	v_fma_f16 v78, v26, s1, v76
	v_fma_f16 v76, v26, s0, v76
	v_fma_f16 v26, v7, v10, -v12
	v_mul_f16_sdwa v7, v7, v10 dst_sel:DWORD dst_unused:UNUSED_PAD src0_sel:DWORD src1_sel:WORD_1
	v_mul_f16_sdwa v12, v83, v11 dst_sel:DWORD dst_unused:UNUSED_PAD src0_sel:DWORD src1_sel:WORD_1
	v_fma_f16 v7, v10, v90, v7
	v_mul_f16_sdwa v10, v48, v11 dst_sel:DWORD dst_unused:UNUSED_PAD src0_sel:DWORD src1_sel:WORD_1
	v_add_f16_e32 v65, v27, v65
	v_fma_f16 v27, v48, v11, -v12
	v_fma_f16 v48, v11, v83, v10
	v_add_f16_e32 v10, v7, v48
	v_sub_f16_e32 v12, v26, v27
	v_fma_f16 v10, v10, -0.5, v75
	v_fma_f16 v74, v12, s0, v10
	v_fma_f16 v79, v12, s1, v10
	v_add_f16_e32 v10, v7, v75
	v_add_f16_e32 v75, v48, v10
	v_mad_u64_u32 v[10:11], s[4:5], s2, v14, 0
	v_add_f16_e32 v12, v26, v27
	v_sub_f16_e32 v48, v7, v48
	v_mov_b32_e32 v7, v11
	v_fma_f16 v80, v12, -0.5, v0
	v_mad_u64_u32 v[11:12], s[4:5], s3, v14, v[7:8]
	v_add_f16_e32 v0, v0, v26
	v_fma_f16 v81, v48, s1, v80
	v_fma_f16 v12, v48, s0, v80
	v_add_f16_e32 v48, v0, v27
	v_mad_u64_u32 v[26:27], s[0:1], s2, v24, 0
	v_mov_b32_e32 v7, s13
	v_add_co_u32_e32 v0, vcc, s12, v8
	v_addc_co_u32_e32 v7, vcc, v7, v9, vcc
	v_lshlrev_b64 v[8:9], 2, v[10:11]
	v_mov_b32_e32 v10, v27
	v_mad_u64_u32 v[10:11], s[0:1], s3, v24, v[10:11]
	v_add_co_u32_e32 v8, vcc, v0, v8
	v_addc_co_u32_e32 v9, vcc, v7, v9, vcc
	v_pack_b32_f16 v11, v48, v75
	v_mov_b32_e32 v27, v10
	v_add_u32_e32 v24, 0x64, v14
	global_store_dword v[8:9], v11, off
	v_lshlrev_b64 v[8:9], 2, v[26:27]
	v_mad_u64_u32 v[10:11], s[0:1], s2, v24, 0
	v_add_co_u32_e32 v8, vcc, v0, v8
	v_addc_co_u32_e32 v9, vcc, v7, v9, vcc
	v_pack_b32_f16 v12, v12, v79
	global_store_dword v[8:9], v12, off
	v_mov_b32_e32 v8, v11
	v_mad_u64_u32 v[8:9], s[0:1], s3, v24, v[8:9]
	v_mad_u64_u32 v[26:27], s[0:1], s2, v23, 0
	v_mov_b32_e32 v11, v8
	v_lshlrev_b64 v[8:9], 2, v[10:11]
	v_mov_b32_e32 v10, v27
	v_mad_u64_u32 v[10:11], s[4:5], s3, v23, v[10:11]
	v_add_co_u32_e32 v8, vcc, v0, v8
	v_addc_co_u32_e32 v9, vcc, v7, v9, vcc
	v_pack_b32_f16 v11, v81, v74
	global_store_dword v[8:9], v11, off
	v_mov_b32_e32 v27, v10
	v_mad_u64_u32 v[10:11], s[4:5], s2, v25, 0
	v_lshlrev_b64 v[8:9], 2, v[26:27]
	v_pack_b32_f16 v26, v50, v65
	v_mad_u64_u32 v[11:12], s[4:5], s3, v25, v[11:12]
	v_add_u32_e32 v12, 0x69, v14
	v_mad_u64_u32 v[23:24], s[4:5], s2, v12, 0
	v_add_co_u32_e32 v8, vcc, v0, v8
	v_addc_co_u32_e32 v9, vcc, v7, v9, vcc
	global_store_dword v[8:9], v26, off
	v_lshlrev_b64 v[8:9], 2, v[10:11]
	v_mov_b32_e32 v10, v24
	v_mad_u64_u32 v[10:11], s[4:5], s3, v12, v[10:11]
	v_add_co_u32_e32 v8, vcc, v0, v8
	v_addc_co_u32_e32 v9, vcc, v7, v9, vcc
	v_pack_b32_f16 v11, v76, v32
	global_store_dword v[8:9], v11, off
	v_mov_b32_e32 v24, v10
	v_mad_u64_u32 v[10:11], s[4:5], s2, v21, 0
	v_lshlrev_b64 v[8:9], 2, v[23:24]
	v_mad_u64_u32 v[23:24], s[4:5], s2, v22, 0
	v_mad_u64_u32 v[11:12], s[4:5], s3, v21, v[11:12]
	v_add_co_u32_e32 v8, vcc, v0, v8
	v_addc_co_u32_e32 v9, vcc, v7, v9, vcc
	v_pack_b32_f16 v25, v78, v52
	global_store_dword v[8:9], v25, off
	v_lshlrev_b64 v[8:9], 2, v[10:11]
	v_mov_b32_e32 v10, v24
	v_mad_u64_u32 v[10:11], s[4:5], s3, v22, v[10:11]
	v_add_co_u32_e32 v8, vcc, v0, v8
	v_addc_co_u32_e32 v9, vcc, v7, v9, vcc
	v_pack_b32_f16 v11, v46, v72
	v_add_u32_e32 v12, 0x6e, v14
	global_store_dword v[8:9], v11, off
	v_mov_b32_e32 v24, v10
	v_mad_u64_u32 v[10:11], s[4:5], s2, v12, 0
	v_lshlrev_b64 v[8:9], 2, v[23:24]
	v_mad_u64_u32 v[21:22], s[4:5], s2, v20, 0
	v_mad_u64_u32 v[11:12], s[4:5], s3, v12, v[11:12]
	v_add_co_u32_e32 v8, vcc, v0, v8
	v_addc_co_u32_e32 v9, vcc, v7, v9, vcc
	v_pack_b32_f16 v23, v49, v68
	global_store_dword v[8:9], v23, off
	v_lshlrev_b64 v[8:9], 2, v[10:11]
	v_mov_b32_e32 v10, v22
	v_mad_u64_u32 v[10:11], s[4:5], s3, v20, v[10:11]
	v_add_co_u32_e32 v8, vcc, v0, v8
	v_addc_co_u32_e32 v9, vcc, v7, v9, vcc
	v_pack_b32_f16 v11, v51, v69
	v_add_u32_e32 v12, 0x41, v14
	global_store_dword v[8:9], v11, off
	v_mov_b32_e32 v22, v10
	v_mad_u64_u32 v[10:11], s[4:5], s2, v12, 0
	v_lshlrev_b64 v[8:9], 2, v[21:22]
	v_pack_b32_f16 v22, v55, v73
	v_mad_u64_u32 v[11:12], s[4:5], s3, v12, v[11:12]
	v_add_u32_e32 v12, 0x73, v14
	v_mad_u64_u32 v[20:21], s[4:5], s2, v12, 0
	v_add_co_u32_e32 v8, vcc, v0, v8
	v_addc_co_u32_e32 v9, vcc, v7, v9, vcc
	global_store_dword v[8:9], v22, off
	v_lshlrev_b64 v[8:9], 2, v[10:11]
	v_mov_b32_e32 v10, v21
	v_mad_u64_u32 v[10:11], s[4:5], s3, v12, v[10:11]
	v_add_co_u32_e32 v8, vcc, v0, v8
	v_addc_co_u32_e32 v9, vcc, v7, v9, vcc
	v_pack_b32_f16 v11, v53, v63
	global_store_dword v[8:9], v11, off
	v_mov_b32_e32 v21, v10
	v_mad_u64_u32 v[10:11], s[4:5], s2, v19, 0
	v_lshlrev_b64 v[8:9], 2, v[20:21]
	v_pack_b32_f16 v21, v54, v64
	v_mad_u64_u32 v[11:12], s[4:5], s3, v19, v[11:12]
	v_add_u32_e32 v12, 0x46, v14
	v_mad_u64_u32 v[19:20], s[4:5], s2, v12, 0
	v_add_co_u32_e32 v8, vcc, v0, v8
	v_addc_co_u32_e32 v9, vcc, v7, v9, vcc
	global_store_dword v[8:9], v21, off
	v_lshlrev_b64 v[8:9], 2, v[10:11]
	v_mov_b32_e32 v10, v20
	v_mad_u64_u32 v[10:11], s[4:5], s3, v12, v[10:11]
	v_add_co_u32_e32 v8, vcc, v0, v8
	v_addc_co_u32_e32 v9, vcc, v7, v9, vcc
	v_pack_b32_f16 v11, v57, v67
	v_or_b32_e32 v12, 0x78, v14
	global_store_dword v[8:9], v11, off
	v_mov_b32_e32 v20, v10
	v_mad_u64_u32 v[10:11], s[4:5], s2, v12, 0
	s_mov_b32 s1, 0x51eb851f
	v_lshlrev_b64 v[8:9], 2, v[19:20]
	v_mad_u64_u32 v[11:12], s[4:5], s3, v12, v[11:12]
	v_mul_hi_u32 v12, v18, s1
	v_add_co_u32_e32 v8, vcc, v0, v8
	v_addc_co_u32_e32 v9, vcc, v7, v9, vcc
	v_pack_b32_f16 v19, v36, v66
	s_movk_i32 s0, 0x64
	global_store_dword v[8:9], v19, off
	v_lshlrev_b64 v[8:9], 2, v[10:11]
	v_lshrrev_b32_e32 v10, 4, v12
	v_mad_u32_u24 v20, v10, s0, v18
	v_mad_u64_u32 v[10:11], s[4:5], s2, v20, 0
	v_add_co_u32_e32 v8, vcc, v0, v8
	v_mad_u64_u32 v[11:12], s[4:5], s3, v20, v[11:12]
	v_add_u32_e32 v12, 50, v20
	v_mad_u64_u32 v[18:19], s[4:5], s2, v12, 0
	v_addc_co_u32_e32 v9, vcc, v7, v9, vcc
	v_pack_b32_f16 v21, v56, v60
	global_store_dword v[8:9], v21, off
	v_lshlrev_b64 v[8:9], 2, v[10:11]
	v_mov_b32_e32 v10, v19
	v_mad_u64_u32 v[10:11], s[4:5], s3, v12, v[10:11]
	v_add_co_u32_e32 v8, vcc, v0, v8
	v_addc_co_u32_e32 v9, vcc, v7, v9, vcc
	v_pack_b32_f16 v11, v58, v47
	v_add_u32_e32 v12, 0x64, v20
	global_store_dword v[8:9], v11, off
	v_mov_b32_e32 v19, v10
	v_mad_u64_u32 v[10:11], s[4:5], s2, v12, 0
	v_lshlrev_b64 v[8:9], 2, v[18:19]
	v_mul_hi_u32 v18, v17, s1
	v_mad_u64_u32 v[11:12], s[4:5], s3, v12, v[11:12]
	v_add_co_u32_e32 v8, vcc, v0, v8
	v_addc_co_u32_e32 v9, vcc, v7, v9, vcc
	v_pack_b32_f16 v12, v59, v71
	global_store_dword v[8:9], v12, off
	v_lshlrev_b64 v[8:9], 2, v[10:11]
	v_lshrrev_b32_e32 v10, 4, v18
	v_mad_u32_u24 v19, v10, s0, v17
	v_mad_u64_u32 v[10:11], s[4:5], s2, v19, 0
	v_add_co_u32_e32 v8, vcc, v0, v8
	v_mad_u64_u32 v[11:12], s[4:5], s3, v19, v[11:12]
	v_add_u32_e32 v12, 50, v19
	v_mad_u64_u32 v[17:18], s[4:5], s2, v12, 0
	v_addc_co_u32_e32 v9, vcc, v7, v9, vcc
	v_pack_b32_f16 v20, v62, v70
	global_store_dword v[8:9], v20, off
	v_lshlrev_b64 v[8:9], 2, v[10:11]
	v_mov_b32_e32 v10, v18
	v_mad_u64_u32 v[10:11], s[4:5], s3, v12, v[10:11]
	v_add_co_u32_e32 v8, vcc, v0, v8
	v_addc_co_u32_e32 v9, vcc, v7, v9, vcc
	v_pack_b32_f16 v11, v61, v77
	v_add_u32_e32 v12, 0x64, v19
	global_store_dword v[8:9], v11, off
	v_mov_b32_e32 v18, v10
	v_mad_u64_u32 v[10:11], s[4:5], s2, v12, 0
	v_lshlrev_b64 v[8:9], 2, v[17:18]
	v_mad_u64_u32 v[17:18], s[4:5], s2, v16, 0
	v_mad_u64_u32 v[11:12], s[4:5], s3, v12, v[11:12]
	v_add_co_u32_e32 v8, vcc, v0, v8
	v_addc_co_u32_e32 v9, vcc, v7, v9, vcc
	v_pack_b32_f16 v19, v45, v38
	global_store_dword v[8:9], v19, off
	v_lshlrev_b64 v[8:9], 2, v[10:11]
	v_mov_b32_e32 v10, v18
	v_mad_u64_u32 v[10:11], s[4:5], s3, v16, v[10:11]
	v_add_co_u32_e32 v8, vcc, v0, v8
	v_addc_co_u32_e32 v9, vcc, v7, v9, vcc
	v_pack_b32_f16 v11, v37, v28
	v_add_u32_e32 v12, 0x55, v14
	global_store_dword v[8:9], v11, off
	v_mov_b32_e32 v18, v10
	v_mad_u64_u32 v[10:11], s[4:5], s2, v12, 0
	v_lshlrev_b64 v[8:9], 2, v[17:18]
	v_pack_b32_f16 v18, v44, v43
	v_mad_u64_u32 v[11:12], s[4:5], s3, v12, v[11:12]
	v_add_u32_e32 v12, 0x87, v14
	v_mad_u64_u32 v[16:17], s[4:5], s2, v12, 0
	v_add_co_u32_e32 v8, vcc, v0, v8
	v_addc_co_u32_e32 v9, vcc, v7, v9, vcc
	global_store_dword v[8:9], v18, off
	v_lshlrev_b64 v[8:9], 2, v[10:11]
	v_mov_b32_e32 v10, v17
	v_mad_u64_u32 v[10:11], s[4:5], s3, v12, v[10:11]
	v_add_co_u32_e32 v8, vcc, v0, v8
	v_addc_co_u32_e32 v9, vcc, v7, v9, vcc
	v_pack_b32_f16 v11, v42, v41
	global_store_dword v[8:9], v11, off
	v_mov_b32_e32 v17, v10
	v_mad_u64_u32 v[10:11], s[4:5], s2, v15, 0
	v_lshlrev_b64 v[8:9], 2, v[16:17]
	v_pack_b32_f16 v17, v29, v40
	v_mad_u64_u32 v[11:12], s[4:5], s3, v15, v[11:12]
	v_add_u32_e32 v12, 0x5a, v14
	v_mad_u64_u32 v[15:16], s[4:5], s2, v12, 0
	v_add_co_u32_e32 v8, vcc, v0, v8
	v_addc_co_u32_e32 v9, vcc, v7, v9, vcc
	global_store_dword v[8:9], v17, off
	v_lshlrev_b64 v[8:9], 2, v[10:11]
	v_mov_b32_e32 v10, v16
	v_mad_u64_u32 v[10:11], s[4:5], s3, v12, v[10:11]
	v_add_co_u32_e32 v8, vcc, v0, v8
	v_addc_co_u32_e32 v9, vcc, v7, v9, vcc
	v_pack_b32_f16 v11, v39, v35
	v_add_u32_e32 v12, 0x8c, v14
	global_store_dword v[8:9], v11, off
	v_mov_b32_e32 v16, v10
	v_mad_u64_u32 v[10:11], s[4:5], s2, v12, 0
	v_lshlrev_b64 v[8:9], 2, v[15:16]
	v_mul_hi_u32 v15, v13, s1
	v_mad_u64_u32 v[11:12], s[4:5], s3, v12, v[11:12]
	v_add_co_u32_e32 v8, vcc, v0, v8
	v_lshrrev_b32_e32 v12, 4, v15
	v_mad_u32_u24 v15, v12, s0, v13
	v_mad_u64_u32 v[12:13], s[0:1], s2, v15, 0
	v_addc_co_u32_e32 v9, vcc, v7, v9, vcc
	v_pack_b32_f16 v14, v30, v34
	global_store_dword v[8:9], v14, off
	v_lshlrev_b64 v[8:9], 2, v[10:11]
	v_mov_b32_e32 v10, v13
	v_mad_u64_u32 v[10:11], s[0:1], s3, v15, v[10:11]
	v_add_co_u32_e32 v8, vcc, v0, v8
	v_addc_co_u32_e32 v9, vcc, v7, v9, vcc
	v_pack_b32_f16 v11, v33, v31
	v_mov_b32_e32 v13, v10
	global_store_dword v[8:9], v11, off
	v_lshlrev_b64 v[8:9], 2, v[12:13]
	v_add_u32_e32 v12, 50, v15
	v_mad_u64_u32 v[10:11], s[0:1], s2, v12, 0
	v_pack_b32_f16 v14, v6, v5
	v_add_u32_e32 v15, 0x64, v15
	v_mov_b32_e32 v5, v11
	v_mad_u64_u32 v[5:6], s[0:1], s3, v12, v[5:6]
	v_mad_u64_u32 v[12:13], s[0:1], s2, v15, 0
	v_add_co_u32_e32 v8, vcc, v0, v8
	v_addc_co_u32_e32 v9, vcc, v7, v9, vcc
	global_store_dword v[8:9], v14, off
	v_mov_b32_e32 v8, v13
	v_mov_b32_e32 v11, v5
	v_mad_u64_u32 v[8:9], s[0:1], s3, v15, v[8:9]
	v_lshlrev_b64 v[5:6], 2, v[10:11]
	v_add_co_u32_e32 v5, vcc, v0, v5
	v_addc_co_u32_e32 v6, vcc, v7, v6, vcc
	v_mov_b32_e32 v13, v8
	global_store_dword v[5:6], v3, off
	v_lshlrev_b64 v[3:4], 2, v[12:13]
	v_add_co_u32_e32 v3, vcc, v0, v3
	v_addc_co_u32_e32 v4, vcc, v7, v4, vcc
	v_pack_b32_f16 v0, v2, v1
	global_store_dword v[3:4], v0, off
.LBB0_14:
	s_endpgm
	.section	.rodata,"a",@progbits
	.p2align	6, 0x0
	.amdhsa_kernel fft_rtc_fwd_len150_factors_10_5_3_wgs_60_tpt_5_halfLds_half_ip_CI_sbrr_dirReg
		.amdhsa_group_segment_fixed_size 0
		.amdhsa_private_segment_fixed_size 0
		.amdhsa_kernarg_size 88
		.amdhsa_user_sgpr_count 6
		.amdhsa_user_sgpr_private_segment_buffer 1
		.amdhsa_user_sgpr_dispatch_ptr 0
		.amdhsa_user_sgpr_queue_ptr 0
		.amdhsa_user_sgpr_kernarg_segment_ptr 1
		.amdhsa_user_sgpr_dispatch_id 0
		.amdhsa_user_sgpr_flat_scratch_init 0
		.amdhsa_user_sgpr_private_segment_size 0
		.amdhsa_uses_dynamic_stack 0
		.amdhsa_system_sgpr_private_segment_wavefront_offset 0
		.amdhsa_system_sgpr_workgroup_id_x 1
		.amdhsa_system_sgpr_workgroup_id_y 0
		.amdhsa_system_sgpr_workgroup_id_z 0
		.amdhsa_system_sgpr_workgroup_info 0
		.amdhsa_system_vgpr_workitem_id 0
		.amdhsa_next_free_vgpr 125
		.amdhsa_next_free_sgpr 24
		.amdhsa_reserve_vcc 1
		.amdhsa_reserve_flat_scratch 0
		.amdhsa_float_round_mode_32 0
		.amdhsa_float_round_mode_16_64 0
		.amdhsa_float_denorm_mode_32 3
		.amdhsa_float_denorm_mode_16_64 3
		.amdhsa_dx10_clamp 1
		.amdhsa_ieee_mode 1
		.amdhsa_fp16_overflow 0
		.amdhsa_exception_fp_ieee_invalid_op 0
		.amdhsa_exception_fp_denorm_src 0
		.amdhsa_exception_fp_ieee_div_zero 0
		.amdhsa_exception_fp_ieee_overflow 0
		.amdhsa_exception_fp_ieee_underflow 0
		.amdhsa_exception_fp_ieee_inexact 0
		.amdhsa_exception_int_div_zero 0
	.end_amdhsa_kernel
	.text
.Lfunc_end0:
	.size	fft_rtc_fwd_len150_factors_10_5_3_wgs_60_tpt_5_halfLds_half_ip_CI_sbrr_dirReg, .Lfunc_end0-fft_rtc_fwd_len150_factors_10_5_3_wgs_60_tpt_5_halfLds_half_ip_CI_sbrr_dirReg
                                        ; -- End function
	.section	.AMDGPU.csdata,"",@progbits
; Kernel info:
; codeLenInByte = 14616
; NumSgprs: 28
; NumVgprs: 125
; ScratchSize: 0
; MemoryBound: 0
; FloatMode: 240
; IeeeMode: 1
; LDSByteSize: 0 bytes/workgroup (compile time only)
; SGPRBlocks: 3
; VGPRBlocks: 31
; NumSGPRsForWavesPerEU: 28
; NumVGPRsForWavesPerEU: 125
; Occupancy: 2
; WaveLimiterHint : 1
; COMPUTE_PGM_RSRC2:SCRATCH_EN: 0
; COMPUTE_PGM_RSRC2:USER_SGPR: 6
; COMPUTE_PGM_RSRC2:TRAP_HANDLER: 0
; COMPUTE_PGM_RSRC2:TGID_X_EN: 1
; COMPUTE_PGM_RSRC2:TGID_Y_EN: 0
; COMPUTE_PGM_RSRC2:TGID_Z_EN: 0
; COMPUTE_PGM_RSRC2:TIDIG_COMP_CNT: 0
	.type	__hip_cuid_7634d18ce256d1ab,@object ; @__hip_cuid_7634d18ce256d1ab
	.section	.bss,"aw",@nobits
	.globl	__hip_cuid_7634d18ce256d1ab
__hip_cuid_7634d18ce256d1ab:
	.byte	0                               ; 0x0
	.size	__hip_cuid_7634d18ce256d1ab, 1

	.ident	"AMD clang version 19.0.0git (https://github.com/RadeonOpenCompute/llvm-project roc-6.4.0 25133 c7fe45cf4b819c5991fe208aaa96edf142730f1d)"
	.section	".note.GNU-stack","",@progbits
	.addrsig
	.addrsig_sym __hip_cuid_7634d18ce256d1ab
	.amdgpu_metadata
---
amdhsa.kernels:
  - .args:
      - .actual_access:  read_only
        .address_space:  global
        .offset:         0
        .size:           8
        .value_kind:     global_buffer
      - .offset:         8
        .size:           8
        .value_kind:     by_value
      - .actual_access:  read_only
        .address_space:  global
        .offset:         16
        .size:           8
        .value_kind:     global_buffer
      - .actual_access:  read_only
        .address_space:  global
        .offset:         24
        .size:           8
        .value_kind:     global_buffer
      - .offset:         32
        .size:           8
        .value_kind:     by_value
      - .actual_access:  read_only
        .address_space:  global
        .offset:         40
        .size:           8
        .value_kind:     global_buffer
      - .actual_access:  read_only
        .address_space:  global
        .offset:         48
        .size:           8
        .value_kind:     global_buffer
      - .offset:         56
        .size:           4
        .value_kind:     by_value
      - .actual_access:  read_only
        .address_space:  global
        .offset:         64
        .size:           8
        .value_kind:     global_buffer
      - .actual_access:  read_only
        .address_space:  global
        .offset:         72
        .size:           8
        .value_kind:     global_buffer
      - .address_space:  global
        .offset:         80
        .size:           8
        .value_kind:     global_buffer
    .group_segment_fixed_size: 0
    .kernarg_segment_align: 8
    .kernarg_segment_size: 88
    .language:       OpenCL C
    .language_version:
      - 2
      - 0
    .max_flat_workgroup_size: 60
    .name:           fft_rtc_fwd_len150_factors_10_5_3_wgs_60_tpt_5_halfLds_half_ip_CI_sbrr_dirReg
    .private_segment_fixed_size: 0
    .sgpr_count:     28
    .sgpr_spill_count: 0
    .symbol:         fft_rtc_fwd_len150_factors_10_5_3_wgs_60_tpt_5_halfLds_half_ip_CI_sbrr_dirReg.kd
    .uniform_work_group_size: 1
    .uses_dynamic_stack: false
    .vgpr_count:     125
    .vgpr_spill_count: 0
    .wavefront_size: 64
amdhsa.target:   amdgcn-amd-amdhsa--gfx906
amdhsa.version:
  - 1
  - 2
...

	.end_amdgpu_metadata
